;; amdgpu-corpus repo=ROCm/rocFFT kind=compiled arch=gfx1100 opt=O3
	.text
	.amdgcn_target "amdgcn-amd-amdhsa--gfx1100"
	.amdhsa_code_object_version 6
	.protected	fft_rtc_fwd_len1008_factors_2_2_2_2_3_3_7_wgs_56_tpt_56_halfLds_dp_ip_CI_unitstride_sbrr_dirReg ; -- Begin function fft_rtc_fwd_len1008_factors_2_2_2_2_3_3_7_wgs_56_tpt_56_halfLds_dp_ip_CI_unitstride_sbrr_dirReg
	.globl	fft_rtc_fwd_len1008_factors_2_2_2_2_3_3_7_wgs_56_tpt_56_halfLds_dp_ip_CI_unitstride_sbrr_dirReg
	.p2align	8
	.type	fft_rtc_fwd_len1008_factors_2_2_2_2_3_3_7_wgs_56_tpt_56_halfLds_dp_ip_CI_unitstride_sbrr_dirReg,@function
fft_rtc_fwd_len1008_factors_2_2_2_2_3_3_7_wgs_56_tpt_56_halfLds_dp_ip_CI_unitstride_sbrr_dirReg: ; @fft_rtc_fwd_len1008_factors_2_2_2_2_3_3_7_wgs_56_tpt_56_halfLds_dp_ip_CI_unitstride_sbrr_dirReg
; %bb.0:
	s_clause 0x2
	s_load_b128 s[4:7], s[0:1], 0x0
	s_load_b64 s[8:9], s[0:1], 0x50
	s_load_b64 s[10:11], s[0:1], 0x18
	v_mul_u32_u24_e32 v1, 0x493, v0
	v_mov_b32_e32 v3, 0
	v_mov_b32_e32 v4, 0
	s_delay_alu instid0(VALU_DEP_3) | instskip(SKIP_1) | instid1(VALU_DEP_1)
	v_lshrrev_b32_e32 v2, 16, v1
	v_mov_b32_e32 v1, 0
	v_dual_mov_b32 v6, v1 :: v_dual_add_nc_u32 v5, s15, v2
	s_waitcnt lgkmcnt(0)
	v_cmp_lt_u64_e64 s2, s[6:7], 2
	s_delay_alu instid0(VALU_DEP_1)
	s_and_b32 vcc_lo, exec_lo, s2
	s_cbranch_vccnz .LBB0_8
; %bb.1:
	s_load_b64 s[2:3], s[0:1], 0x10
	v_mov_b32_e32 v3, 0
	s_add_u32 s12, s10, 8
	v_mov_b32_e32 v4, 0
	s_addc_u32 s13, s11, 0
	s_mov_b64 s[16:17], 1
	s_waitcnt lgkmcnt(0)
	s_add_u32 s14, s2, 8
	s_addc_u32 s15, s3, 0
.LBB0_2:                                ; =>This Inner Loop Header: Depth=1
	s_load_b64 s[18:19], s[14:15], 0x0
                                        ; implicit-def: $vgpr7_vgpr8
	s_mov_b32 s2, exec_lo
	s_waitcnt lgkmcnt(0)
	v_or_b32_e32 v2, s19, v6
	s_delay_alu instid0(VALU_DEP_1)
	v_cmpx_ne_u64_e32 0, v[1:2]
	s_xor_b32 s3, exec_lo, s2
	s_cbranch_execz .LBB0_4
; %bb.3:                                ;   in Loop: Header=BB0_2 Depth=1
	v_cvt_f32_u32_e32 v2, s18
	v_cvt_f32_u32_e32 v7, s19
	s_sub_u32 s2, 0, s18
	s_subb_u32 s20, 0, s19
	s_delay_alu instid0(VALU_DEP_1) | instskip(NEXT) | instid1(VALU_DEP_1)
	v_fmac_f32_e32 v2, 0x4f800000, v7
	v_rcp_f32_e32 v2, v2
	s_waitcnt_depctr 0xfff
	v_mul_f32_e32 v2, 0x5f7ffffc, v2
	s_delay_alu instid0(VALU_DEP_1) | instskip(NEXT) | instid1(VALU_DEP_1)
	v_mul_f32_e32 v7, 0x2f800000, v2
	v_trunc_f32_e32 v7, v7
	s_delay_alu instid0(VALU_DEP_1) | instskip(SKIP_1) | instid1(VALU_DEP_2)
	v_fmac_f32_e32 v2, 0xcf800000, v7
	v_cvt_u32_f32_e32 v7, v7
	v_cvt_u32_f32_e32 v2, v2
	s_delay_alu instid0(VALU_DEP_2) | instskip(NEXT) | instid1(VALU_DEP_2)
	v_mul_lo_u32 v8, s2, v7
	v_mul_hi_u32 v9, s2, v2
	v_mul_lo_u32 v10, s20, v2
	s_delay_alu instid0(VALU_DEP_2) | instskip(SKIP_1) | instid1(VALU_DEP_2)
	v_add_nc_u32_e32 v8, v9, v8
	v_mul_lo_u32 v9, s2, v2
	v_add_nc_u32_e32 v8, v8, v10
	s_delay_alu instid0(VALU_DEP_2) | instskip(NEXT) | instid1(VALU_DEP_2)
	v_mul_hi_u32 v10, v2, v9
	v_mul_lo_u32 v11, v2, v8
	v_mul_hi_u32 v12, v2, v8
	v_mul_hi_u32 v13, v7, v9
	v_mul_lo_u32 v9, v7, v9
	v_mul_hi_u32 v14, v7, v8
	v_mul_lo_u32 v8, v7, v8
	v_add_co_u32 v10, vcc_lo, v10, v11
	v_add_co_ci_u32_e32 v11, vcc_lo, 0, v12, vcc_lo
	s_delay_alu instid0(VALU_DEP_2) | instskip(NEXT) | instid1(VALU_DEP_2)
	v_add_co_u32 v9, vcc_lo, v10, v9
	v_add_co_ci_u32_e32 v9, vcc_lo, v11, v13, vcc_lo
	v_add_co_ci_u32_e32 v10, vcc_lo, 0, v14, vcc_lo
	s_delay_alu instid0(VALU_DEP_2) | instskip(NEXT) | instid1(VALU_DEP_2)
	v_add_co_u32 v8, vcc_lo, v9, v8
	v_add_co_ci_u32_e32 v9, vcc_lo, 0, v10, vcc_lo
	s_delay_alu instid0(VALU_DEP_2) | instskip(NEXT) | instid1(VALU_DEP_2)
	v_add_co_u32 v2, vcc_lo, v2, v8
	v_add_co_ci_u32_e32 v7, vcc_lo, v7, v9, vcc_lo
	s_delay_alu instid0(VALU_DEP_2) | instskip(SKIP_1) | instid1(VALU_DEP_3)
	v_mul_hi_u32 v8, s2, v2
	v_mul_lo_u32 v10, s20, v2
	v_mul_lo_u32 v9, s2, v7
	s_delay_alu instid0(VALU_DEP_1) | instskip(SKIP_1) | instid1(VALU_DEP_2)
	v_add_nc_u32_e32 v8, v8, v9
	v_mul_lo_u32 v9, s2, v2
	v_add_nc_u32_e32 v8, v8, v10
	s_delay_alu instid0(VALU_DEP_2) | instskip(NEXT) | instid1(VALU_DEP_2)
	v_mul_hi_u32 v10, v2, v9
	v_mul_lo_u32 v11, v2, v8
	v_mul_hi_u32 v12, v2, v8
	v_mul_hi_u32 v13, v7, v9
	v_mul_lo_u32 v9, v7, v9
	v_mul_hi_u32 v14, v7, v8
	v_mul_lo_u32 v8, v7, v8
	v_add_co_u32 v10, vcc_lo, v10, v11
	v_add_co_ci_u32_e32 v11, vcc_lo, 0, v12, vcc_lo
	s_delay_alu instid0(VALU_DEP_2) | instskip(NEXT) | instid1(VALU_DEP_2)
	v_add_co_u32 v9, vcc_lo, v10, v9
	v_add_co_ci_u32_e32 v9, vcc_lo, v11, v13, vcc_lo
	v_add_co_ci_u32_e32 v10, vcc_lo, 0, v14, vcc_lo
	s_delay_alu instid0(VALU_DEP_2) | instskip(NEXT) | instid1(VALU_DEP_2)
	v_add_co_u32 v8, vcc_lo, v9, v8
	v_add_co_ci_u32_e32 v9, vcc_lo, 0, v10, vcc_lo
	s_delay_alu instid0(VALU_DEP_2) | instskip(NEXT) | instid1(VALU_DEP_2)
	v_add_co_u32 v2, vcc_lo, v2, v8
	v_add_co_ci_u32_e32 v13, vcc_lo, v7, v9, vcc_lo
	s_delay_alu instid0(VALU_DEP_2) | instskip(SKIP_1) | instid1(VALU_DEP_3)
	v_mul_hi_u32 v14, v5, v2
	v_mad_u64_u32 v[9:10], null, v6, v2, 0
	v_mad_u64_u32 v[7:8], null, v5, v13, 0
	;; [unrolled: 1-line block ×3, first 2 shown]
	s_delay_alu instid0(VALU_DEP_2) | instskip(NEXT) | instid1(VALU_DEP_3)
	v_add_co_u32 v2, vcc_lo, v14, v7
	v_add_co_ci_u32_e32 v7, vcc_lo, 0, v8, vcc_lo
	s_delay_alu instid0(VALU_DEP_2) | instskip(NEXT) | instid1(VALU_DEP_2)
	v_add_co_u32 v2, vcc_lo, v2, v9
	v_add_co_ci_u32_e32 v2, vcc_lo, v7, v10, vcc_lo
	v_add_co_ci_u32_e32 v7, vcc_lo, 0, v12, vcc_lo
	s_delay_alu instid0(VALU_DEP_2) | instskip(NEXT) | instid1(VALU_DEP_2)
	v_add_co_u32 v2, vcc_lo, v2, v11
	v_add_co_ci_u32_e32 v9, vcc_lo, 0, v7, vcc_lo
	s_delay_alu instid0(VALU_DEP_2) | instskip(SKIP_1) | instid1(VALU_DEP_3)
	v_mul_lo_u32 v10, s19, v2
	v_mad_u64_u32 v[7:8], null, s18, v2, 0
	v_mul_lo_u32 v11, s18, v9
	s_delay_alu instid0(VALU_DEP_2) | instskip(NEXT) | instid1(VALU_DEP_2)
	v_sub_co_u32 v7, vcc_lo, v5, v7
	v_add3_u32 v8, v8, v11, v10
	s_delay_alu instid0(VALU_DEP_1) | instskip(NEXT) | instid1(VALU_DEP_1)
	v_sub_nc_u32_e32 v10, v6, v8
	v_subrev_co_ci_u32_e64 v10, s2, s19, v10, vcc_lo
	v_add_co_u32 v11, s2, v2, 2
	s_delay_alu instid0(VALU_DEP_1) | instskip(SKIP_3) | instid1(VALU_DEP_3)
	v_add_co_ci_u32_e64 v12, s2, 0, v9, s2
	v_sub_co_u32 v13, s2, v7, s18
	v_sub_co_ci_u32_e32 v8, vcc_lo, v6, v8, vcc_lo
	v_subrev_co_ci_u32_e64 v10, s2, 0, v10, s2
	v_cmp_le_u32_e32 vcc_lo, s18, v13
	s_delay_alu instid0(VALU_DEP_3) | instskip(SKIP_1) | instid1(VALU_DEP_4)
	v_cmp_eq_u32_e64 s2, s19, v8
	v_cndmask_b32_e64 v13, 0, -1, vcc_lo
	v_cmp_le_u32_e32 vcc_lo, s19, v10
	v_cndmask_b32_e64 v14, 0, -1, vcc_lo
	v_cmp_le_u32_e32 vcc_lo, s18, v7
	;; [unrolled: 2-line block ×3, first 2 shown]
	v_cndmask_b32_e64 v15, 0, -1, vcc_lo
	v_cmp_eq_u32_e32 vcc_lo, s19, v10
	s_delay_alu instid0(VALU_DEP_2) | instskip(SKIP_3) | instid1(VALU_DEP_3)
	v_cndmask_b32_e64 v7, v15, v7, s2
	v_cndmask_b32_e32 v10, v14, v13, vcc_lo
	v_add_co_u32 v13, vcc_lo, v2, 1
	v_add_co_ci_u32_e32 v14, vcc_lo, 0, v9, vcc_lo
	v_cmp_ne_u32_e32 vcc_lo, 0, v10
	s_delay_alu instid0(VALU_DEP_2) | instskip(NEXT) | instid1(VALU_DEP_4)
	v_cndmask_b32_e32 v8, v14, v12, vcc_lo
	v_cndmask_b32_e32 v10, v13, v11, vcc_lo
	v_cmp_ne_u32_e32 vcc_lo, 0, v7
	s_delay_alu instid0(VALU_DEP_2)
	v_dual_cndmask_b32 v7, v2, v10 :: v_dual_cndmask_b32 v8, v9, v8
.LBB0_4:                                ;   in Loop: Header=BB0_2 Depth=1
	s_and_not1_saveexec_b32 s2, s3
	s_cbranch_execz .LBB0_6
; %bb.5:                                ;   in Loop: Header=BB0_2 Depth=1
	v_cvt_f32_u32_e32 v2, s18
	s_sub_i32 s3, 0, s18
	s_delay_alu instid0(VALU_DEP_1) | instskip(SKIP_2) | instid1(VALU_DEP_1)
	v_rcp_iflag_f32_e32 v2, v2
	s_waitcnt_depctr 0xfff
	v_mul_f32_e32 v2, 0x4f7ffffe, v2
	v_cvt_u32_f32_e32 v2, v2
	s_delay_alu instid0(VALU_DEP_1) | instskip(NEXT) | instid1(VALU_DEP_1)
	v_mul_lo_u32 v7, s3, v2
	v_mul_hi_u32 v7, v2, v7
	s_delay_alu instid0(VALU_DEP_1) | instskip(NEXT) | instid1(VALU_DEP_1)
	v_add_nc_u32_e32 v2, v2, v7
	v_mul_hi_u32 v2, v5, v2
	s_delay_alu instid0(VALU_DEP_1) | instskip(SKIP_1) | instid1(VALU_DEP_2)
	v_mul_lo_u32 v7, v2, s18
	v_add_nc_u32_e32 v8, 1, v2
	v_sub_nc_u32_e32 v7, v5, v7
	s_delay_alu instid0(VALU_DEP_1) | instskip(SKIP_1) | instid1(VALU_DEP_2)
	v_subrev_nc_u32_e32 v9, s18, v7
	v_cmp_le_u32_e32 vcc_lo, s18, v7
	v_dual_cndmask_b32 v7, v7, v9 :: v_dual_cndmask_b32 v2, v2, v8
	s_delay_alu instid0(VALU_DEP_1) | instskip(NEXT) | instid1(VALU_DEP_2)
	v_cmp_le_u32_e32 vcc_lo, s18, v7
	v_add_nc_u32_e32 v8, 1, v2
	s_delay_alu instid0(VALU_DEP_1)
	v_dual_cndmask_b32 v7, v2, v8 :: v_dual_mov_b32 v8, v1
.LBB0_6:                                ;   in Loop: Header=BB0_2 Depth=1
	s_or_b32 exec_lo, exec_lo, s2
	s_load_b64 s[2:3], s[12:13], 0x0
	s_delay_alu instid0(VALU_DEP_1) | instskip(NEXT) | instid1(VALU_DEP_2)
	v_mul_lo_u32 v2, v8, s18
	v_mul_lo_u32 v11, v7, s19
	v_mad_u64_u32 v[9:10], null, v7, s18, 0
	s_add_u32 s16, s16, 1
	s_addc_u32 s17, s17, 0
	s_add_u32 s12, s12, 8
	s_addc_u32 s13, s13, 0
	;; [unrolled: 2-line block ×3, first 2 shown]
	s_delay_alu instid0(VALU_DEP_1) | instskip(SKIP_1) | instid1(VALU_DEP_2)
	v_add3_u32 v2, v10, v11, v2
	v_sub_co_u32 v9, vcc_lo, v5, v9
	v_sub_co_ci_u32_e32 v2, vcc_lo, v6, v2, vcc_lo
	s_waitcnt lgkmcnt(0)
	s_delay_alu instid0(VALU_DEP_2) | instskip(NEXT) | instid1(VALU_DEP_2)
	v_mul_lo_u32 v10, s3, v9
	v_mul_lo_u32 v2, s2, v2
	v_mad_u64_u32 v[5:6], null, s2, v9, v[3:4]
	v_cmp_ge_u64_e64 s2, s[16:17], s[6:7]
	s_delay_alu instid0(VALU_DEP_1) | instskip(NEXT) | instid1(VALU_DEP_2)
	s_and_b32 vcc_lo, exec_lo, s2
	v_add3_u32 v4, v10, v6, v2
	s_delay_alu instid0(VALU_DEP_3)
	v_mov_b32_e32 v3, v5
	s_cbranch_vccnz .LBB0_9
; %bb.7:                                ;   in Loop: Header=BB0_2 Depth=1
	v_dual_mov_b32 v5, v7 :: v_dual_mov_b32 v6, v8
	s_branch .LBB0_2
.LBB0_8:
	v_dual_mov_b32 v8, v6 :: v_dual_mov_b32 v7, v5
.LBB0_9:
	s_lshl_b64 s[2:3], s[6:7], 3
	v_mul_hi_u32 v1, 0x4924925, v0
	s_add_u32 s2, s10, s2
	s_addc_u32 s3, s11, s3
	s_load_b64 s[2:3], s[2:3], 0x0
	s_load_b64 s[0:1], s[0:1], 0x20
	s_delay_alu instid0(VALU_DEP_1) | instskip(NEXT) | instid1(VALU_DEP_1)
	v_mul_u32_u24_e32 v5, 56, v1
	v_sub_nc_u32_e32 v80, v0, v5
	s_delay_alu instid0(VALU_DEP_1)
	v_or_b32_e32 v72, 0x1c0, v80
	s_waitcnt lgkmcnt(0)
	v_mul_lo_u32 v6, s2, v8
	v_mul_lo_u32 v9, s3, v7
	v_mad_u64_u32 v[1:2], null, s2, v7, v[3:4]
	v_cmp_gt_u64_e32 vcc_lo, s[0:1], v[7:8]
	v_cmp_le_u64_e64 s0, s[0:1], v[7:8]
	s_delay_alu instid0(VALU_DEP_3) | instskip(NEXT) | instid1(VALU_DEP_2)
	v_add3_u32 v2, v9, v2, v6
	s_and_saveexec_b32 s1, s0
	s_delay_alu instid0(SALU_CYCLE_1)
	s_xor_b32 s0, exec_lo, s1
; %bb.10:
	v_or_b32_e32 v72, 0x1c0, v80
; %bb.11:
	s_or_saveexec_b32 s1, s0
	v_lshlrev_b64 v[82:83], 4, v[1:2]
                                        ; implicit-def: $vgpr70_vgpr71
                                        ; implicit-def: $vgpr38_vgpr39
                                        ; implicit-def: $vgpr54_vgpr55
                                        ; implicit-def: $vgpr34_vgpr35
                                        ; implicit-def: $vgpr66_vgpr67
                                        ; implicit-def: $vgpr42_vgpr43
                                        ; implicit-def: $vgpr58_vgpr59
                                        ; implicit-def: $vgpr26_vgpr27
                                        ; implicit-def: $vgpr62_vgpr63
                                        ; implicit-def: $vgpr30_vgpr31
                                        ; implicit-def: $vgpr46_vgpr47
                                        ; implicit-def: $vgpr14_vgpr15
                                        ; implicit-def: $vgpr50_vgpr51
                                        ; implicit-def: $vgpr10_vgpr11
                                        ; implicit-def: $vgpr22_vgpr23
                                        ; implicit-def: $vgpr2_vgpr3
                                        ; implicit-def: $vgpr18_vgpr19
                                        ; implicit-def: $vgpr6_vgpr7
	s_xor_b32 exec_lo, exec_lo, s1
	s_cbranch_execz .LBB0_13
; %bb.12:
	v_mov_b32_e32 v81, 0
	s_delay_alu instid0(VALU_DEP_2) | instskip(NEXT) | instid1(VALU_DEP_1)
	v_add_co_u32 v40, s0, s8, v82
	v_add_co_ci_u32_e64 v41, s0, s9, v83, s0
	s_delay_alu instid0(VALU_DEP_3) | instskip(SKIP_3) | instid1(VALU_DEP_4)
	v_lshlrev_b64 v[0:1], 4, v[80:81]
	v_or_b32_e32 v38, 0x380, v80
	v_mov_b32_e32 v39, v81
	v_mov_b32_e32 v73, v81
	v_add_co_u32 v32, s0, v40, v0
	s_delay_alu instid0(VALU_DEP_1) | instskip(NEXT) | instid1(VALU_DEP_4)
	v_add_co_ci_u32_e64 v33, s0, v41, v1, s0
	v_lshlrev_b64 v[38:39], 4, v[38:39]
	s_delay_alu instid0(VALU_DEP_3) | instskip(NEXT) | instid1(VALU_DEP_1)
	v_add_co_u32 v34, s0, 0x1000, v32
	v_add_co_ci_u32_e64 v35, s0, 0, v33, s0
	v_add_co_u32 v36, s0, 0x2000, v32
	s_delay_alu instid0(VALU_DEP_1)
	v_add_co_ci_u32_e64 v37, s0, 0, v33, s0
	v_add_co_u32 v68, s0, 0x3000, v32
	s_clause 0x9
	global_load_b128 v[4:7], v[32:33], off
	global_load_b128 v[0:3], v[32:33], off offset:896
	global_load_b128 v[16:19], v[34:35], off offset:3968
	;; [unrolled: 1-line block ×9, first 2 shown]
	v_add_co_ci_u32_e64 v69, s0, 0, v33, s0
	v_lshlrev_b64 v[32:33], 4, v[72:73]
	v_add_co_u32 v38, s0, v40, v38
	s_delay_alu instid0(VALU_DEP_1) | instskip(NEXT) | instid1(VALU_DEP_3)
	v_add_co_ci_u32_e64 v39, s0, v41, v39, s0
	v_add_co_u32 v64, s0, v40, v32
	s_delay_alu instid0(VALU_DEP_1)
	v_add_co_ci_u32_e64 v65, s0, v41, v33, s0
	s_clause 0x7
	global_load_b128 v[60:63], v[36:37], off offset:3456
	global_load_b128 v[56:59], v[68:69], off offset:256
	;; [unrolled: 1-line block ×4, first 2 shown]
	global_load_b128 v[52:55], v[38:39], off
	global_load_b128 v[36:39], v[64:65], off
	global_load_b128 v[64:67], v[68:69], off offset:1152
	global_load_b128 v[68:71], v[68:69], off offset:2944
.LBB0_13:
	s_or_b32 exec_lo, exec_lo, s1
	s_waitcnt vmcnt(15)
	v_add_f64 v[87:88], v[4:5], -v[16:17]
	v_add_f64 v[95:96], v[6:7], -v[18:19]
	s_waitcnt vmcnt(14)
	v_add_f64 v[20:21], v[0:1], -v[20:21]
	v_add_f64 v[99:100], v[2:3], -v[22:23]
	;; [unrolled: 3-line block ×4, first 2 shown]
	s_waitcnt vmcnt(7)
	v_add_f64 v[60:61], v[28:29], -v[60:61]
	s_waitcnt vmcnt(6)
	v_add_f64 v[56:57], v[24:25], -v[56:57]
	v_add_f64 v[115:116], v[30:31], -v[62:63]
	s_waitcnt vmcnt(0)
	v_add_f64 v[127:128], v[38:39], -v[70:71]
	v_add_f64 v[64:65], v[40:41], -v[64:65]
	;; [unrolled: 1-line block ×7, first 2 shown]
	v_add_nc_u32_e32 v81, 56, v80
	v_add_nc_u32_e32 v106, 0x70, v80
	;; [unrolled: 1-line block ×3, first 2 shown]
	v_lshl_add_u32 v107, v80, 3, 0
	v_add_nc_u32_e32 v78, 0xe0, v80
	v_lshl_add_u32 v73, v80, 4, 0
	v_add_nc_u32_e32 v76, 0x118, v80
	v_add_nc_u32_e32 v75, 0x188, v80
	v_and_b32_e32 v130, 1, v80
	v_lshl_add_u32 v70, v106, 4, 0
	v_lshl_add_u32 v71, v77, 4, 0
	v_add_nc_u32_e32 v112, 0xc00, v107
	v_lshl_add_u32 v74, v78, 4, 0
	v_lshl_add_u32 v79, v76, 4, 0
	;; [unrolled: 1-line block ×3, first 2 shown]
	v_add_nc_u32_e32 v108, 0x1000, v107
	v_add_nc_u32_e32 v84, 0x400, v107
	;; [unrolled: 1-line block ×5, first 2 shown]
	v_fma_f64 v[85:86], v[4:5], 2.0, -v[87:88]
	v_fma_f64 v[93:94], v[6:7], 2.0, -v[95:96]
	;; [unrolled: 1-line block ×18, first 2 shown]
	v_lshl_add_u32 v40, v72, 4, 0
	v_lshlrev_b32_e32 v0, 3, v72
	v_add_nc_u32_e32 v9, 0x150, v80
	v_lshl_add_u32 v41, v81, 4, 0
	v_cmp_gt_u32_e64 s0, 48, v80
	v_lshrrev_b32_e32 v144, 4, v77
	v_sub_nc_u32_e32 v0, v40, v0
	v_lshl_add_u32 v105, v9, 4, 0
	v_lshrrev_b32_e32 v145, 4, v106
	v_lshrrev_b32_e32 v147, 4, v78
	;; [unrolled: 1-line block ×3, first 2 shown]
	v_and_b32_e32 v150, 0xff, v106
	v_and_b32_e32 v151, 0xff, v77
	;; [unrolled: 1-line block ×4, first 2 shown]
	s_mov_b32 s2, 0xe8584caa
	s_mov_b32 s3, 0x3febb67a
	;; [unrolled: 1-line block ×4, first 2 shown]
	ds_store_b128 v73, v[85:88]
	ds_store_b128 v41, v[18:21]
	;; [unrolled: 1-line block ×9, first 2 shown]
	s_waitcnt lgkmcnt(0)
	s_barrier
	buffer_gl0_inv
	ds_load_b64 v[54:55], v0
	ds_load_b64 v[56:57], v107 offset:7616
	ds_load_2addr_b64 v[10:13], v107 offset1:56
	ds_load_2addr_b64 v[1:4], v112 offset0:120 offset1:176
	ds_load_2addr_b64 v[18:21], v107 offset0:112 offset1:168
	ds_load_2addr_b64 v[5:8], v108 offset0:104 offset1:160
	ds_load_2addr_b64 v[22:25], v84 offset0:96 offset1:152
	ds_load_2addr_b64 v[26:29], v109 offset0:88 offset1:144
	ds_load_2addr_b64 v[30:33], v110 offset0:80 offset1:136
	ds_load_2addr_b64 v[34:37], v111 offset0:72 offset1:128
	s_waitcnt lgkmcnt(0)
	s_barrier
	buffer_gl0_inv
	ds_store_b128 v73, v[93:96]
	ds_store_b128 v41, v[97:100]
	;; [unrolled: 1-line block ×4, first 2 shown]
	v_lshlrev_b32_e32 v14, 4, v130
	ds_store_b128 v74, v[113:116]
	ds_store_b128 v79, v[117:120]
	;; [unrolled: 1-line block ×5, first 2 shown]
	s_waitcnt lgkmcnt(0)
	s_barrier
	buffer_gl0_inv
	global_load_b128 v[14:17], v14, s[4:5]
	ds_load_2addr_b64 v[38:41], v112 offset0:120 offset1:176
	ds_load_2addr_b64 v[42:45], v108 offset0:104 offset1:160
	;; [unrolled: 1-line block ×4, first 2 shown]
	ds_load_b64 v[58:59], v107 offset:7616
	ds_load_b64 v[60:61], v0
	v_and_b32_e32 v79, 3, v80
	s_delay_alu instid0(VALU_DEP_1)
	v_lshlrev_b32_e32 v105, 4, v79
	s_waitcnt vmcnt(0) lgkmcnt(2)
	v_mul_f64 v[85:86], v[50:51], v[16:17]
	v_mul_f64 v[87:88], v[52:53], v[16:17]
	;; [unrolled: 1-line block ×16, first 2 shown]
	s_waitcnt lgkmcnt(1)
	v_mul_f64 v[89:90], v[58:59], v[16:17]
	v_mul_f64 v[16:17], v[56:57], v[16:17]
	v_fma_f64 v[34:35], v[34:35], v[14:15], -v[85:86]
	v_fma_f64 v[36:37], v[36:37], v[14:15], -v[87:88]
	;; [unrolled: 1-line block ×4, first 2 shown]
	v_fma_f64 v[66:67], v[38:39], v[14:15], v[91:92]
	v_fma_f64 v[3:4], v[3:4], v[14:15], -v[64:65]
	v_fma_f64 v[7:8], v[7:8], v[14:15], -v[68:69]
	v_fma_f64 v[68:69], v[40:41], v[14:15], v[93:94]
	v_fma_f64 v[42:43], v[42:43], v[14:15], v[95:96]
	;; [unrolled: 1-line block ×3, first 2 shown]
	v_fma_f64 v[62:63], v[26:27], v[14:15], -v[70:71]
	v_fma_f64 v[46:47], v[46:47], v[14:15], v[99:100]
	v_fma_f64 v[64:65], v[28:29], v[14:15], -v[73:74]
	v_fma_f64 v[48:49], v[48:49], v[14:15], v[101:102]
	v_fma_f64 v[50:51], v[50:51], v[14:15], v[103:104]
	;; [unrolled: 1-line block ×3, first 2 shown]
	v_fma_f64 v[56:57], v[56:57], v[14:15], -v[89:90]
	v_fma_f64 v[58:59], v[58:59], v[14:15], v[16:17]
	ds_load_2addr_b64 v[14:17], v107 offset1:56
	ds_load_2addr_b64 v[26:29], v107 offset0:112 offset1:168
	v_add_f64 v[89:90], v[30:31], -v[34:35]
	v_add_f64 v[91:92], v[32:33], -v[36:37]
	ds_load_2addr_b64 v[34:37], v84 offset0:96 offset1:152
	ds_load_2addr_b64 v[38:41], v110 offset0:80 offset1:136
	v_add_f64 v[70:71], v[10:11], -v[1:2]
	s_waitcnt lgkmcnt(3)
	v_add_f64 v[66:67], v[14:15], -v[66:67]
	v_add_f64 v[73:74], v[12:13], -v[3:4]
	;; [unrolled: 1-line block ×4, first 2 shown]
	s_waitcnt lgkmcnt(2)
	v_add_f64 v[42:43], v[26:27], -v[42:43]
	v_add_f64 v[87:88], v[20:21], -v[7:8]
	;; [unrolled: 1-line block ×5, first 2 shown]
	v_lshlrev_b32_e32 v2, 1, v81
	v_lshlrev_b32_e32 v3, 1, v106
	;; [unrolled: 1-line block ×3, first 2 shown]
	v_add_f64 v[56:57], v[54:55], -v[56:57]
	v_add_f64 v[58:59], v[60:61], -v[58:59]
	v_lshlrev_b32_e32 v5, 1, v78
	v_lshlrev_b32_e32 v7, 1, v76
	;; [unrolled: 1-line block ×3, first 2 shown]
	s_waitcnt lgkmcnt(1)
	v_add_f64 v[46:47], v[34:35], -v[46:47]
	v_add_f64 v[48:49], v[36:37], -v[48:49]
	s_waitcnt lgkmcnt(0)
	v_add_f64 v[50:51], v[38:39], -v[50:51]
	v_add_f64 v[52:53], v[40:41], -v[52:53]
	v_and_or_b32 v93, 0xfc, v2, v130
	v_and_or_b32 v94, 0x1fc, v3, v130
	;; [unrolled: 1-line block ×6, first 2 shown]
	v_lshl_add_u32 v118, v93, 3, 0
	v_lshl_add_u32 v119, v94, 3, 0
	;; [unrolled: 1-line block ×6, first 2 shown]
	v_lshlrev_b32_e32 v1, 1, v80
	v_fma_f64 v[30:31], v[30:31], 2.0, -v[89:90]
	v_fma_f64 v[32:33], v[32:33], 2.0, -v[91:92]
	v_lshlrev_b32_e32 v6, 1, v72
	v_fma_f64 v[10:11], v[10:11], 2.0, -v[70:71]
	v_fma_f64 v[93:94], v[14:15], 2.0, -v[66:67]
	v_fma_f64 v[12:13], v[12:13], 2.0, -v[73:74]
	v_fma_f64 v[18:19], v[18:19], 2.0, -v[85:86]
	v_fma_f64 v[95:96], v[16:17], 2.0, -v[68:69]
	v_fma_f64 v[97:98], v[26:27], 2.0, -v[42:43]
	v_fma_f64 v[20:21], v[20:21], 2.0, -v[87:88]
	v_fma_f64 v[99:100], v[28:29], 2.0, -v[44:45]
	v_fma_f64 v[22:23], v[22:23], 2.0, -v[62:63]
	v_fma_f64 v[24:25], v[24:25], 2.0, -v[64:65]
	v_and_or_b32 v72, 0x7c, v1, v130
	v_lshlrev_b32_e32 v9, 1, v75
	v_and_or_b32 v75, 0x3fc, v6, v130
	v_fma_f64 v[54:55], v[54:55], 2.0, -v[56:57]
	v_fma_f64 v[60:61], v[60:61], 2.0, -v[58:59]
	v_lshl_add_u32 v72, v72, 3, 0
	v_and_or_b32 v117, 0x3fc, v9, v130
	v_lshl_add_u32 v75, v75, 3, 0
	v_fma_f64 v[101:102], v[34:35], 2.0, -v[46:47]
	v_fma_f64 v[103:104], v[36:37], 2.0, -v[48:49]
	v_fma_f64 v[113:114], v[38:39], 2.0, -v[50:51]
	v_fma_f64 v[115:116], v[40:41], 2.0, -v[52:53]
	v_lshl_add_u32 v117, v117, 3, 0
	s_barrier
	buffer_gl0_inv
	ds_store_2addr_b64 v72, v[10:11], v[70:71] offset1:2
	ds_store_2addr_b64 v118, v[12:13], v[73:74] offset1:2
	;; [unrolled: 1-line block ×9, first 2 shown]
	s_waitcnt lgkmcnt(0)
	s_barrier
	buffer_gl0_inv
	ds_load_2addr_b64 v[10:13], v107 offset1:56
	ds_load_2addr_b64 v[14:17], v112 offset0:120 offset1:176
	ds_load_2addr_b64 v[18:21], v107 offset0:112 offset1:168
	;; [unrolled: 1-line block ×4, first 2 shown]
	ds_load_b64 v[62:63], v0
	ds_load_b64 v[64:65], v107 offset:7616
	ds_load_2addr_b64 v[30:33], v109 offset0:88 offset1:144
	ds_load_2addr_b64 v[34:37], v110 offset0:80 offset1:136
	;; [unrolled: 1-line block ×3, first 2 shown]
	s_waitcnt lgkmcnt(0)
	s_barrier
	buffer_gl0_inv
	ds_store_2addr_b64 v72, v[93:94], v[66:67] offset1:2
	ds_store_2addr_b64 v118, v[95:96], v[68:69] offset1:2
	;; [unrolled: 1-line block ×9, first 2 shown]
	s_waitcnt lgkmcnt(0)
	s_barrier
	buffer_gl0_inv
	global_load_b128 v[42:45], v105, s[4:5] offset:32
	ds_load_2addr_b64 v[46:49], v112 offset0:120 offset1:176
	ds_load_2addr_b64 v[50:53], v108 offset0:104 offset1:160
	;; [unrolled: 1-line block ×4, first 2 shown]
	ds_load_b64 v[66:67], v107 offset:7616
	ds_load_b64 v[68:69], v0
	v_and_b32_e32 v105, 7, v80
	s_waitcnt vmcnt(0) lgkmcnt(5)
	v_mul_f64 v[70:71], v[46:47], v[44:45]
	v_mul_f64 v[72:73], v[48:49], v[44:45]
	s_waitcnt lgkmcnt(4)
	v_mul_f64 v[74:75], v[50:51], v[44:45]
	v_mul_f64 v[85:86], v[52:53], v[44:45]
	s_waitcnt lgkmcnt(3)
	;; [unrolled: 3-line block ×3, first 2 shown]
	v_mul_f64 v[91:92], v[58:59], v[44:45]
	v_mul_f64 v[93:94], v[60:61], v[44:45]
	;; [unrolled: 1-line block ×10, first 2 shown]
	s_waitcnt lgkmcnt(1)
	v_mul_f64 v[95:96], v[66:67], v[44:45]
	v_mul_f64 v[44:45], v[64:65], v[44:45]
	v_fma_f64 v[70:71], v[14:15], v[42:43], -v[70:71]
	v_fma_f64 v[72:73], v[16:17], v[42:43], -v[72:73]
	v_fma_f64 v[74:75], v[22:23], v[42:43], -v[74:75]
	v_fma_f64 v[85:86], v[24:25], v[42:43], -v[85:86]
	v_fma_f64 v[30:31], v[30:31], v[42:43], -v[87:88]
	v_fma_f64 v[32:33], v[32:33], v[42:43], -v[89:90]
	v_fma_f64 v[38:39], v[38:39], v[42:43], -v[91:92]
	v_fma_f64 v[40:41], v[40:41], v[42:43], -v[93:94]
	v_fma_f64 v[46:47], v[46:47], v[42:43], v[97:98]
	v_fma_f64 v[48:49], v[48:49], v[42:43], v[99:100]
	;; [unrolled: 1-line block ×8, first 2 shown]
	v_fma_f64 v[64:65], v[64:65], v[42:43], -v[95:96]
	v_fma_f64 v[42:43], v[66:67], v[42:43], v[44:45]
	ds_load_2addr_b64 v[14:17], v107 offset1:56
	ds_load_2addr_b64 v[22:25], v107 offset0:112 offset1:168
	v_and_or_b32 v91, 0x78, v1, v79
	v_and_or_b32 v92, 0x3f8, v6, v79
	;; [unrolled: 1-line block ×5, first 2 shown]
	v_lshl_add_u32 v116, v91, 3, 0
	v_and_or_b32 v91, 0xf8, v2, v79
	v_and_or_b32 v96, 0x2f8, v7, v79
	;; [unrolled: 1-line block ×3, first 2 shown]
	v_lshl_add_u32 v117, v92, 3, 0
	v_lshl_add_u32 v119, v93, 3, 0
	;; [unrolled: 1-line block ×7, first 2 shown]
	v_lshlrev_b32_e32 v115, 4, v105
	v_and_or_b32 v79, 0x3f8, v9, v79
	v_and_or_b32 v2, 0xf0, v2, v105
	v_add_f64 v[44:45], v[10:11], -v[70:71]
	v_add_f64 v[66:67], v[12:13], -v[72:73]
	;; [unrolled: 1-line block ×8, first 2 shown]
	ds_load_2addr_b64 v[30:33], v84 offset0:96 offset1:152
	ds_load_2addr_b64 v[38:41], v110 offset0:80 offset1:136
	s_waitcnt lgkmcnt(3)
	v_add_f64 v[46:47], v[14:15], -v[46:47]
	v_add_f64 v[48:49], v[16:17], -v[48:49]
	s_waitcnt lgkmcnt(2)
	v_add_f64 v[50:51], v[22:23], -v[50:51]
	v_add_f64 v[52:53], v[24:25], -v[52:53]
	v_lshl_add_u32 v79, v79, 3, 0
	s_waitcnt lgkmcnt(0)
	s_barrier
	v_add_f64 v[64:65], v[62:63], -v[64:65]
	v_add_f64 v[42:43], v[68:69], -v[42:43]
	buffer_gl0_inv
	v_and_or_b32 v3, 0x1f0, v3, v105
	v_and_or_b32 v4, 0x1f0, v4, v105
	;; [unrolled: 1-line block ×7, first 2 shown]
	v_add_f64 v[54:55], v[30:31], -v[54:55]
	v_add_f64 v[56:57], v[32:33], -v[56:57]
	;; [unrolled: 1-line block ×4, first 2 shown]
	v_fma_f64 v[10:11], v[10:11], 2.0, -v[44:45]
	v_fma_f64 v[12:13], v[12:13], 2.0, -v[66:67]
	;; [unrolled: 1-line block ×14, first 2 shown]
	ds_store_2addr_b64 v116, v[10:11], v[44:45] offset1:4
	ds_store_2addr_b64 v118, v[12:13], v[66:67] offset1:4
	;; [unrolled: 1-line block ×9, first 2 shown]
	v_fma_f64 v[99:100], v[30:31], 2.0, -v[54:55]
	v_fma_f64 v[101:102], v[32:33], 2.0, -v[56:57]
	;; [unrolled: 1-line block ×4, first 2 shown]
	s_waitcnt lgkmcnt(0)
	s_barrier
	buffer_gl0_inv
	ds_load_2addr_b64 v[10:13], v107 offset1:56
	ds_load_2addr_b64 v[14:17], v112 offset0:120 offset1:176
	ds_load_2addr_b64 v[18:21], v107 offset0:112 offset1:168
	;; [unrolled: 1-line block ×4, first 2 shown]
	ds_load_b64 v[62:63], v0
	ds_load_b64 v[64:65], v107 offset:7616
	ds_load_2addr_b64 v[30:33], v109 offset0:88 offset1:144
	ds_load_2addr_b64 v[34:37], v110 offset0:80 offset1:136
	ds_load_2addr_b64 v[38:41], v111 offset0:72 offset1:128
	s_waitcnt lgkmcnt(0)
	s_barrier
	buffer_gl0_inv
	ds_store_2addr_b64 v116, v[91:92], v[46:47] offset1:4
	ds_store_2addr_b64 v118, v[93:94], v[48:49] offset1:4
	;; [unrolled: 1-line block ×9, first 2 shown]
	s_waitcnt lgkmcnt(0)
	s_barrier
	buffer_gl0_inv
	global_load_b128 v[42:45], v115, s[4:5] offset:96
	ds_load_2addr_b64 v[46:49], v112 offset0:120 offset1:176
	ds_load_2addr_b64 v[50:53], v108 offset0:104 offset1:160
	;; [unrolled: 1-line block ×4, first 2 shown]
	ds_load_b64 v[66:67], v107 offset:7616
	ds_load_b64 v[68:69], v0
	v_and_b32_e32 v79, 15, v80
	v_lshl_add_u32 v121, v9, 3, 0
	s_waitcnt vmcnt(0) lgkmcnt(5)
	v_mul_f64 v[70:71], v[46:47], v[44:45]
	v_mul_f64 v[72:73], v[48:49], v[44:45]
	s_waitcnt lgkmcnt(4)
	v_mul_f64 v[74:75], v[50:51], v[44:45]
	v_mul_f64 v[85:86], v[52:53], v[44:45]
	s_waitcnt lgkmcnt(3)
	;; [unrolled: 3-line block ×4, first 2 shown]
	v_mul_f64 v[95:96], v[66:67], v[44:45]
	v_mul_f64 v[97:98], v[14:15], v[44:45]
	;; [unrolled: 1-line block ×10, first 2 shown]
	v_fma_f64 v[70:71], v[14:15], v[42:43], -v[70:71]
	v_fma_f64 v[72:73], v[16:17], v[42:43], -v[72:73]
	;; [unrolled: 1-line block ×9, first 2 shown]
	v_fma_f64 v[46:47], v[46:47], v[42:43], v[97:98]
	v_fma_f64 v[48:49], v[48:49], v[42:43], v[99:100]
	;; [unrolled: 1-line block ×9, first 2 shown]
	ds_load_2addr_b64 v[14:17], v107 offset1:56
	ds_load_2addr_b64 v[22:25], v107 offset0:112 offset1:168
	ds_load_2addr_b64 v[30:33], v84 offset0:96 offset1:152
	v_lshlrev_b32_e32 v104, 5, v79
	v_lshl_add_u32 v115, v2, 3, 0
	v_lshl_add_u32 v116, v3, 3, 0
	;; [unrolled: 1-line block ×6, first 2 shown]
	v_add_f64 v[44:45], v[10:11], -v[70:71]
	v_add_f64 v[66:67], v[12:13], -v[72:73]
	v_add_f64 v[70:71], v[18:19], -v[74:75]
	v_add_f64 v[72:73], v[20:21], -v[85:86]
	v_add_f64 v[74:75], v[26:27], -v[87:88]
	v_add_f64 v[86:87], v[28:29], -v[89:90]
	v_add_f64 v[88:89], v[34:35], -v[38:39]
	v_add_f64 v[90:91], v[36:37], -v[40:41]
	ds_load_2addr_b64 v[38:41], v110 offset0:80 offset1:136
	v_add_f64 v[64:65], v[62:63], -v[64:65]
	s_waitcnt lgkmcnt(3)
	v_add_f64 v[46:47], v[14:15], -v[46:47]
	v_add_f64 v[48:49], v[16:17], -v[48:49]
	s_waitcnt lgkmcnt(2)
	v_add_f64 v[50:51], v[22:23], -v[50:51]
	;; [unrolled: 3-line block ×3, first 2 shown]
	v_add_f64 v[56:57], v[32:33], -v[56:57]
	v_and_b32_e32 v85, 15, v76
	v_add_f64 v[92:93], v[68:69], -v[42:43]
	v_and_or_b32 v42, 0x70, v1, v105
	v_lshl_add_u32 v105, v6, 3, 0
	s_waitcnt lgkmcnt(0)
	v_lshlrev_b32_e32 v114, 5, v85
	s_barrier
	v_lshl_add_u32 v113, v42, 3, 0
	buffer_gl0_inv
	v_add_f64 v[58:59], v[38:39], -v[58:59]
	v_add_f64 v[60:61], v[40:41], -v[60:61]
	v_fma_f64 v[0:1], v[10:11], 2.0, -v[44:45]
	v_fma_f64 v[10:11], v[12:13], 2.0, -v[66:67]
	;; [unrolled: 1-line block ×15, first 2 shown]
	ds_store_2addr_b64 v113, v[0:1], v[44:45] offset1:8
	ds_store_2addr_b64 v115, v[10:11], v[66:67] offset1:8
	;; [unrolled: 1-line block ×9, first 2 shown]
	v_fma_f64 v[100:101], v[38:39], 2.0, -v[58:59]
	v_fma_f64 v[102:103], v[40:41], 2.0, -v[60:61]
	;; [unrolled: 1-line block ×3, first 2 shown]
	s_waitcnt lgkmcnt(0)
	s_barrier
	buffer_gl0_inv
	ds_load_2addr_b64 v[8:11], v107 offset1:56
	ds_load_2addr_b64 v[40:43], v110 offset0:80 offset1:136
	ds_load_2addr_b64 v[36:39], v108 offset0:160 offset1:216
	;; [unrolled: 1-line block ×8, first 2 shown]
	s_waitcnt lgkmcnt(0)
	s_barrier
	buffer_gl0_inv
	ds_store_2addr_b64 v113, v[62:63], v[46:47] offset1:8
	ds_store_2addr_b64 v115, v[94:95], v[48:49] offset1:8
	;; [unrolled: 1-line block ×9, first 2 shown]
	v_mov_b32_e32 v120, 0
	s_waitcnt lgkmcnt(0)
	s_barrier
	buffer_gl0_inv
	s_clause 0x3
	global_load_b128 v[32:35], v104, s[4:5] offset:224
	global_load_b128 v[20:23], v114, s[4:5] offset:224
	;; [unrolled: 1-line block ×4, first 2 shown]
	v_and_b32_e32 v86, 15, v77
	v_and_b32_e32 v87, 15, v81
	v_lshrrev_b32_e32 v113, 4, v80
	v_subrev_nc_u32_e32 v121, 48, v80
	v_lshrrev_b32_e32 v143, 4, v81
	v_lshlrev_b32_e32 v56, 5, v86
	s_clause 0x3
	global_load_b128 v[52:55], v56, s[4:5] offset:224
	global_load_b128 v[56:59], v56, s[4:5] offset:240
	;; [unrolled: 1-line block ×3, first 2 shown]
	global_load_b64 v[74:75], v114, s[4:5] offset:248
	v_lshlrev_b32_e32 v64, 5, v87
	v_mul_u32_u24_e32 v146, 48, v113
	v_cndmask_b32_e64 v113, v121, v80, s0
	v_and_b32_e32 v149, 0xff, v81
	global_load_b64 v[72:73], v64, s[4:5] offset:224
	ds_load_2addr_b64 v[68:71], v110 offset0:80 offset1:136
	ds_load_2addr_b64 v[64:67], v108 offset0:160 offset1:216
	;; [unrolled: 1-line block ×6, first 2 shown]
	v_or_b32_e32 v146, v146, v79
	s_waitcnt vmcnt(8) lgkmcnt(5)
	v_mul_f64 v[104:105], v[68:69], v[34:35]
	s_waitcnt vmcnt(7)
	v_mul_f64 v[114:115], v[70:71], v[22:23]
	s_waitcnt vmcnt(6) lgkmcnt(4)
	v_mul_f64 v[116:117], v[64:65], v[46:47]
	s_waitcnt vmcnt(5)
	v_mul_f64 v[118:119], v[66:67], v[50:51]
	s_waitcnt lgkmcnt(3)
	v_mul_f64 v[121:122], v[88:89], v[34:35]
	s_waitcnt lgkmcnt(2)
	;; [unrolled: 2-line block ×4, first 2 shown]
	v_mul_f64 v[131:132], v[100:101], v[46:47]
	v_mul_f64 v[137:138], v[24:25], v[34:35]
	;; [unrolled: 1-line block ×4, first 2 shown]
	s_waitcnt vmcnt(4)
	v_mul_f64 v[125:126], v[90:91], v[54:55]
	v_mul_f64 v[54:55], v[26:27], v[54:55]
	v_mul_f64 v[141:142], v[36:37], v[46:47]
	s_waitcnt vmcnt(1)
	v_mul_f64 v[135:136], v[102:103], v[74:75]
	v_mul_f64 v[22:23], v[42:43], v[22:23]
	;; [unrolled: 1-line block ×8, first 2 shown]
	v_fma_f64 v[40:41], v[40:41], v[32:33], -v[104:105]
	v_mul_f64 v[104:105], v[28:29], v[46:47]
	v_mul_f64 v[46:47], v[16:17], v[46:47]
	v_fma_f64 v[38:39], v[38:39], v[62:63], -v[118:119]
	v_mul_u32_u24_e32 v118, 48, v143
	v_mul_u32_u24_e32 v143, 48, v144
	v_mul_u32_u24_e32 v144, 48, v145
	v_mul_u32_u24_e32 v145, 48, v147
	v_mul_u32_u24_e32 v147, 48, v148
	v_fma_f64 v[36:37], v[36:37], v[44:45], -v[116:117]
	s_waitcnt vmcnt(0)
	v_fma_f64 v[42:43], v[42:43], v[72:73], -v[114:115]
	v_fma_f64 v[24:25], v[24:25], v[32:33], -v[121:122]
	;; [unrolled: 1-line block ×7, first 2 shown]
	v_or_b32_e32 v17, v118, v87
	v_or_b32_e32 v18, v143, v86
	;; [unrolled: 1-line block ×3, first 2 shown]
	v_fma_f64 v[52:53], v[90:91], v[52:53], v[54:55]
	v_fma_f64 v[54:55], v[88:89], v[32:33], v[137:138]
	;; [unrolled: 1-line block ×7, first 2 shown]
	v_fma_f64 v[30:31], v[30:31], v[56:57], -v[127:128]
	v_fma_f64 v[121:122], v[14:15], v[20:21], -v[133:134]
	v_fma_f64 v[56:57], v[94:95], v[56:57], v[58:59]
	v_fma_f64 v[60:61], v[98:99], v[20:21], v[60:61]
	v_lshl_add_u32 v134, v87, 3, 0
	v_mul_lo_u16 v148, 0xab, v149
	v_mul_lo_u16 v149, 0xab, v150
	v_lshlrev_b32_e32 v119, 1, v113
	v_mul_lo_u16 v14, 0xab, v151
	v_mul_u32_u24_e32 v15, 0xaaab, v152
	v_lshrrev_b16 v156, 13, v148
	v_lshrrev_b16 v157, 13, v149
	v_fma_f64 v[62:63], v[92:93], v[44:45], v[104:105]
	v_fma_f64 v[44:45], v[100:101], v[44:45], v[46:47]
	;; [unrolled: 1-line block ×3, first 2 shown]
	v_lshlrev_b64 v[12:13], 4, v[119:120]
	v_mul_u32_u24_e32 v16, 0xaaab, v153
	v_or_b32_e32 v19, v144, v79
	v_lshrrev_b16 v158, 13, v14
	v_lshrrev_b32_e32 v159, 21, v15
	v_add_f64 v[48:49], v[40:41], v[36:37]
	v_add_f64 v[58:59], v[42:43], v[38:39]
	v_mul_lo_u16 v14, v156, 48
	v_add_f64 v[66:67], v[24:25], v[28:29]
	v_mul_lo_u16 v15, v157, 48
	v_add_co_u32 v74, s0, s4, v12
	v_add_f64 v[70:71], v[114:115], v[116:117]
	v_lshrrev_b32_e32 v160, 21, v16
	v_lshl_add_u32 v105, v17, 3, 0
	v_lshl_add_u32 v120, v19, 3, 0
	;; [unrolled: 1-line block ×3, first 2 shown]
	v_add_co_ci_u32_e64 v75, s0, s5, v13, s0
	v_sub_nc_u16 v137, v81, v14
	v_add_f64 v[87:88], v[32:33], v[64:65]
	v_sub_nc_u16 v138, v106, v15
	v_add_f64 v[89:90], v[34:35], v[50:51]
	v_add_f64 v[68:69], v[26:27], v[30:31]
	;; [unrolled: 1-line block ×4, first 2 shown]
	ds_load_2addr_b64 v[12:15], v107 offset1:56
	ds_load_2addr_b64 v[16:19], v107 offset0:112 offset1:168
	ds_load_2addr_b64 v[20:23], v84 offset0:96 offset1:152
	v_or_b32_e32 v79, v145, v79
	v_add_f64 v[91:92], v[8:9], v[40:41]
	v_add_f64 v[129:130], v[32:33], -v[64:65]
	v_add_f64 v[103:104], v[4:5], v[24:25]
	v_add_f64 v[40:41], v[40:41], -v[36:37]
	v_add_f64 v[101:102], v[10:11], v[42:43]
	v_add_f64 v[125:126], v[0:1], v[114:115]
	v_add_f64 v[42:43], v[42:43], -v[38:39]
	v_add_f64 v[93:94], v[54:55], v[62:63]
	v_add_f64 v[97:98], v[85:86], v[44:45]
	;; [unrolled: 1-line block ×3, first 2 shown]
	v_lshl_add_u32 v133, v79, 3, 0
	v_mul_lo_u16 v79, v158, 48
	v_mul_lo_u16 v135, v159, 48
	v_add_f64 v[24:25], v[24:25], -v[28:29]
	v_add_f64 v[118:119], v[6:7], v[26:27]
	v_fma_f64 v[8:9], v[48:49], -0.5, v[8:9]
	s_waitcnt lgkmcnt(2)
	v_add_f64 v[32:33], v[12:13], v[32:33]
	v_add_f64 v[48:49], v[34:35], -v[50:51]
	v_fma_f64 v[4:5], v[66:67], -0.5, v[4:5]
	v_add_f64 v[66:67], v[52:53], -v[56:57]
	s_waitcnt lgkmcnt(1)
	v_add_f64 v[52:53], v[18:19], v[52:53]
	v_fma_f64 v[10:11], v[58:59], -0.5, v[10:11]
	v_fma_f64 v[0:1], v[70:71], -0.5, v[0:1]
	v_add_f64 v[70:71], v[60:61], -v[46:47]
	v_add_f64 v[34:35], v[14:15], v[34:35]
	s_waitcnt lgkmcnt(0)
	v_add_f64 v[60:61], v[22:23], v[60:61]
	v_add_f64 v[58:59], v[54:55], -v[62:63]
	v_add_f64 v[54:55], v[16:17], v[54:55]
	v_add_f64 v[127:128], v[2:3], v[121:122]
	v_add_f64 v[26:27], v[26:27], -v[30:31]
	v_fma_f64 v[12:13], v[87:88], -0.5, v[12:13]
	v_sub_nc_u16 v79, v77, v79
	v_fma_f64 v[14:15], v[89:90], -0.5, v[14:15]
	v_fma_f64 v[6:7], v[68:69], -0.5, v[6:7]
	v_add_f64 v[68:69], v[85:86], -v[44:45]
	v_fma_f64 v[2:3], v[72:73], -0.5, v[2:3]
	v_add_f64 v[72:73], v[20:21], v[85:86]
	v_fma_f64 v[18:19], v[95:96], -0.5, v[18:19]
	v_sub_nc_u16 v135, v78, v135
	v_add_f64 v[77:78], v[114:115], -v[116:117]
	v_add_f64 v[85:86], v[121:122], -v[123:124]
	v_add_f64 v[36:37], v[91:92], v[36:37]
	v_add_f64 v[38:39], v[101:102], v[38:39]
	;; [unrolled: 1-line block ×3, first 2 shown]
	v_mul_lo_u16 v136, v160, 48
	v_fma_f64 v[16:17], v[93:94], -0.5, v[16:17]
	v_fma_f64 v[20:21], v[97:98], -0.5, v[20:21]
	;; [unrolled: 1-line block ×3, first 2 shown]
	v_add_f64 v[87:88], v[125:126], v[116:117]
	v_sub_nc_u16 v99, v76, v136
	v_and_b32_e32 v163, 0xff, v79
	v_and_b32_e32 v161, 0xff, v137
	v_add_f64 v[30:31], v[118:119], v[30:31]
	v_fma_f64 v[91:92], v[129:130], s[2:3], v[8:9]
	v_fma_f64 v[8:9], v[129:130], s[6:7], v[8:9]
	v_add_f64 v[64:65], v[32:33], v[64:65]
	v_lshl_add_u32 v131, v146, 3, 0
	v_and_b32_e32 v162, 0xff, v138
	v_add_f64 v[52:53], v[52:53], v[56:57]
	v_fma_f64 v[93:94], v[48:49], s[2:3], v[10:11]
	v_fma_f64 v[10:11], v[48:49], s[6:7], v[10:11]
	v_lshlrev_b32_e32 v100, 5, v161
	v_add_f64 v[50:51], v[34:35], v[50:51]
	v_add_f64 v[46:47], v[60:61], v[46:47]
	v_fma_f64 v[48:49], v[58:59], s[2:3], v[4:5]
	v_fma_f64 v[4:5], v[58:59], s[6:7], v[4:5]
	v_add_f64 v[54:55], v[54:55], v[62:63]
	v_add_f64 v[89:90], v[127:128], v[123:124]
	v_fma_f64 v[56:57], v[40:41], s[6:7], v[12:13]
	v_fma_f64 v[40:41], v[40:41], s[2:3], v[12:13]
	;; [unrolled: 1-line block ×10, first 2 shown]
	v_add_f64 v[44:45], v[72:73], v[44:45]
	v_fma_f64 v[72:73], v[26:27], s[6:7], v[18:19]
	v_fma_f64 v[95:96], v[26:27], s[2:3], v[18:19]
	s_barrier
	v_fma_f64 v[62:63], v[24:25], s[6:7], v[16:17]
	v_fma_f64 v[70:71], v[24:25], s[2:3], v[16:17]
	;; [unrolled: 1-line block ×6, first 2 shown]
	buffer_gl0_inv
	ds_store_2addr_b64 v131, v[36:37], v[91:92] offset1:16
	ds_store_b64 v131, v[8:9] offset:256
	ds_store_2addr_b64 v105, v[38:39], v[93:94] offset1:16
	ds_store_b64 v105, v[10:11] offset:256
	;; [unrolled: 2-line block ×6, first 2 shown]
	v_lshlrev_b32_e32 v36, 5, v162
	v_and_b32_e32 v164, 0xffff, v135
	s_waitcnt lgkmcnt(0)
	s_barrier
	buffer_gl0_inv
	ds_load_2addr_b64 v[0:3], v107 offset1:56
	ds_load_2addr_b64 v[4:7], v110 offset0:80 offset1:136
	ds_load_2addr_b64 v[8:11], v108 offset0:160 offset1:216
	ds_load_2addr_b64 v[12:15], v107 offset0:112 offset1:168
	ds_load_2addr_b64 v[16:19], v110 offset0:192 offset1:248
	ds_load_2addr_b64 v[20:23], v111 offset0:16 offset1:72
	ds_load_2addr_b64 v[24:27], v84 offset0:96 offset1:152
	ds_load_2addr_b64 v[28:31], v108 offset0:48 offset1:104
	ds_load_2addr_b64 v[32:35], v111 offset0:128 offset1:184
	s_waitcnt lgkmcnt(0)
	s_barrier
	buffer_gl0_inv
	ds_store_2addr_b64 v131, v[64:65], v[56:57] offset1:16
	ds_store_b64 v131, v[40:41] offset:256
	ds_store_2addr_b64 v105, v[50:51], v[60:61] offset1:16
	ds_store_b64 v105, v[42:43] offset:256
	;; [unrolled: 2-line block ×6, first 2 shown]
	s_waitcnt lgkmcnt(0)
	s_barrier
	buffer_gl0_inv
	s_clause 0x1
	global_load_b128 v[40:43], v[74:75], off offset:736
	global_load_b128 v[44:47], v100, s[4:5] offset:736
	v_lshlrev_b32_e32 v37, 5, v163
	s_clause 0x1
	global_load_b128 v[48:51], v[74:75], off offset:752
	global_load_b128 v[52:55], v100, s[4:5] offset:752
	v_and_b32_e32 v165, 0xffff, v99
	s_clause 0x1
	global_load_b128 v[85:88], v36, s[4:5] offset:736
	global_load_b128 v[94:97], v37, s[4:5] offset:736
	v_lshlrev_b32_e32 v38, 5, v164
	v_cmp_lt_u32_e64 s0, 47, v80
	v_lshlrev_b32_e32 v39, 5, v165
	s_clause 0x5
	global_load_b128 v[98:101], v36, s[4:5] offset:752
	global_load_b128 v[102:105], v37, s[4:5] offset:752
	;; [unrolled: 1-line block ×6, first 2 shown]
	ds_load_2addr_b64 v[89:92], v110 offset0:80 offset1:136
	ds_load_2addr_b64 v[130:133], v108 offset0:160 offset1:216
	;; [unrolled: 1-line block ×6, first 2 shown]
	s_waitcnt vmcnt(11) lgkmcnt(5)
	v_mul_f64 v[36:37], v[89:90], v[42:43]
	s_waitcnt vmcnt(10)
	v_mul_f64 v[38:39], v[91:92], v[46:47]
	s_waitcnt vmcnt(9) lgkmcnt(4)
	v_mul_f64 v[56:57], v[130:131], v[50:51]
	s_waitcnt vmcnt(8)
	v_mul_f64 v[58:59], v[132:133], v[54:55]
	v_mul_f64 v[42:43], v[4:5], v[42:43]
	s_waitcnt vmcnt(7) lgkmcnt(3)
	v_mul_f64 v[62:63], v[134:135], v[87:88]
	s_waitcnt vmcnt(5) lgkmcnt(2)
	v_mul_f64 v[66:67], v[138:139], v[100:101]
	v_mul_f64 v[64:65], v[136:137], v[96:97]
	s_waitcnt vmcnt(4)
	v_mul_f64 v[70:71], v[140:141], v[104:105]
	s_waitcnt vmcnt(3) lgkmcnt(1)
	v_mul_f64 v[72:73], v[142:143], v[116:117]
	s_waitcnt vmcnt(2) lgkmcnt(0)
	v_mul_f64 v[76:77], v[146:147], v[120:121]
	s_waitcnt vmcnt(1)
	v_mul_f64 v[150:151], v[144:145], v[124:125]
	s_waitcnt vmcnt(0)
	v_mul_f64 v[152:153], v[148:149], v[128:129]
	v_mul_f64 v[50:51], v[8:9], v[50:51]
	;; [unrolled: 1-line block ×5, first 2 shown]
	v_fma_f64 v[60:61], v[4:5], v[40:41], -v[36:37]
	v_mul_f64 v[4:5], v[18:19], v[96:97]
	v_fma_f64 v[74:75], v[8:9], v[48:49], -v[56:57]
	v_fma_f64 v[36:37], v[6:7], v[44:45], -v[38:39]
	v_mul_f64 v[6:7], v[20:21], v[100:101]
	v_fma_f64 v[38:39], v[10:11], v[52:53], -v[58:59]
	v_mul_f64 v[8:9], v[22:23], v[104:105]
	v_fma_f64 v[58:59], v[16:17], v[85:86], -v[62:63]
	v_fma_f64 v[68:69], v[20:21], v[98:99], -v[66:67]
	v_mul_f64 v[10:11], v[28:29], v[116:117]
	v_fma_f64 v[56:57], v[18:19], v[94:95], -v[64:65]
	v_fma_f64 v[62:63], v[22:23], v[102:103], -v[70:71]
	v_mul_f64 v[16:17], v[30:31], v[124:125]
	v_mul_f64 v[20:21], v[32:33], v[120:121]
	v_fma_f64 v[70:71], v[28:29], v[114:115], -v[72:73]
	v_fma_f64 v[78:79], v[32:33], v[118:119], -v[76:77]
	v_mul_f64 v[18:19], v[34:35], v[128:129]
	v_fma_f64 v[64:65], v[30:31], v[122:123], -v[150:151]
	v_fma_f64 v[72:73], v[34:35], v[126:127], -v[152:153]
	v_fma_f64 v[88:89], v[89:90], v[40:41], v[42:43]
	v_fma_f64 v[66:67], v[130:131], v[48:49], v[50:51]
	;; [unrolled: 1-line block ×5, first 2 shown]
	v_cndmask_b32_e64 v54, 0, 0x480, s0
	v_lshlrev_b32_e32 v55, 3, v113
	v_cmp_gt_u32_e64 s0, 32, v80
	s_delay_alu instid0(VALU_DEP_2)
	v_add3_u32 v113, 0, v54, v55
	v_fma_f64 v[94:95], v[136:137], v[94:95], v[4:5]
	v_add_f64 v[4:5], v[60:61], v[74:75]
	v_add_f64 v[28:29], v[2:3], v[36:37]
	v_fma_f64 v[86:87], v[138:139], v[98:99], v[6:7]
	v_add_f64 v[6:7], v[36:37], v[38:39]
	v_fma_f64 v[96:97], v[140:141], v[102:103], v[8:9]
	v_add_f64 v[30:31], v[12:13], v[58:59]
	v_add_f64 v[8:9], v[58:59], v[68:69]
	v_fma_f64 v[98:99], v[142:143], v[114:115], v[10:11]
	v_add_f64 v[32:33], v[14:15], v[56:57]
	v_add_f64 v[10:11], v[56:57], v[62:63]
	v_fma_f64 v[102:103], v[144:145], v[122:123], v[16:17]
	v_fma_f64 v[100:101], v[146:147], v[118:119], v[20:21]
	v_add_f64 v[20:21], v[0:1], v[60:61]
	v_add_f64 v[16:17], v[70:71], v[78:79]
	v_fma_f64 v[104:105], v[148:149], v[126:127], v[18:19]
	v_add_f64 v[34:35], v[26:27], v[64:65]
	v_add_f64 v[18:19], v[64:65], v[72:73]
	;; [unrolled: 1-line block ×3, first 2 shown]
	v_add_f64 v[22:23], v[88:89], -v[66:67]
	v_fma_f64 v[0:1], v[4:5], -0.5, v[0:1]
	v_add_f64 v[4:5], v[90:91], -v[76:77]
	v_add_f64 v[42:43], v[92:93], -v[86:87]
	v_fma_f64 v[6:7], v[6:7], -0.5, v[2:3]
	v_add_f64 v[28:29], v[28:29], v[38:39]
	v_add_f64 v[30:31], v[30:31], v[68:69]
	v_fma_f64 v[8:9], v[8:9], -0.5, v[12:13]
	v_add_f64 v[12:13], v[94:95], -v[96:97]
	v_add_f64 v[32:33], v[32:33], v[62:63]
	v_fma_f64 v[10:11], v[10:11], -0.5, v[14:15]
	v_add_f64 v[14:15], v[98:99], -v[100:101]
	v_fma_f64 v[16:17], v[16:17], -0.5, v[24:25]
	v_add_f64 v[24:25], v[102:103], -v[104:105]
	v_add_f64 v[2:3], v[34:35], v[72:73]
	v_fma_f64 v[18:19], v[18:19], -0.5, v[26:27]
	v_add_f64 v[26:27], v[20:21], v[74:75]
	v_add_f64 v[34:35], v[40:41], v[78:79]
	v_lshlrev_b32_e32 v20, 3, v164
	v_lshlrev_b32_e32 v21, 3, v165
	v_fma_f64 v[40:41], v[22:23], s[2:3], v[0:1]
	v_fma_f64 v[44:45], v[22:23], s[6:7], v[0:1]
	;; [unrolled: 1-line block ×8, first 2 shown]
	v_and_b32_e32 v12, 0xffff, v156
	v_and_b32_e32 v13, 0xffff, v157
	v_fma_f64 v[52:53], v[14:15], s[2:3], v[16:17]
	v_fma_f64 v[0:1], v[14:15], s[6:7], v[16:17]
	v_and_b32_e32 v14, 0xffff, v158
	v_fma_f64 v[4:5], v[24:25], s[2:3], v[18:19]
	v_fma_f64 v[6:7], v[24:25], s[6:7], v[18:19]
	v_mul_u32_u24_e32 v12, 0x480, v12
	v_lshlrev_b32_e32 v17, 3, v161
	v_mul_u32_u24_e32 v13, 0x480, v13
	v_lshlrev_b32_e32 v18, 3, v162
	v_mul_u32_u24_e32 v15, 0x480, v159
	v_mul_u32_u24_e32 v16, 0x480, v160
	;; [unrolled: 1-line block ×3, first 2 shown]
	v_lshlrev_b32_e32 v19, 3, v163
	v_add3_u32 v118, 0, v12, v17
	v_add3_u32 v117, 0, v13, v18
	;; [unrolled: 1-line block ×5, first 2 shown]
	ds_load_2addr_b64 v[20:23], v107 offset1:56
	ds_load_2addr_b64 v[12:15], v84 offset0:96 offset1:152
	ds_load_2addr_b64 v[16:19], v107 offset0:112 offset1:168
	s_waitcnt lgkmcnt(0)
	s_barrier
	buffer_gl0_inv
	ds_store_2addr_b64 v113, v[26:27], v[40:41] offset1:48
	ds_store_b64 v113, v[44:45] offset:768
	ds_store_2addr_b64 v118, v[28:29], v[46:47] offset1:48
	ds_store_b64 v118, v[48:49] offset:768
	;; [unrolled: 2-line block ×6, first 2 shown]
	s_waitcnt lgkmcnt(0)
	s_barrier
	buffer_gl0_inv
	ds_load_2addr_b64 v[24:27], v107 offset1:56
	ds_load_2addr_b64 v[48:51], v107 offset0:144 offset1:200
	ds_load_2addr_b64 v[40:43], v110 offset0:32 offset1:88
	;; [unrolled: 1-line block ×6, first 2 shown]
                                        ; implicit-def: $vgpr84_vgpr85
                                        ; implicit-def: $vgpr10_vgpr11
	s_and_saveexec_b32 s1, s0
	s_cbranch_execz .LBB0_15
; %bb.14:
	v_add_nc_u32_e32 v0, 0x200, v107
	ds_load_2addr_b64 v[4:7], v112 offset0:16 offset1:160
	ds_load_2addr_b64 v[8:11], v109 offset0:48 offset1:192
	;; [unrolled: 1-line block ×3, first 2 shown]
	ds_load_b64 v[84:85], v107 offset:7808
.LBB0_15:
	s_or_b32 exec_lo, exec_lo, s1
	v_add_f64 v[119:120], v[88:89], v[66:67]
	v_add_f64 v[121:122], v[90:91], v[76:77]
	;; [unrolled: 1-line block ×7, first 2 shown]
	v_add_f64 v[60:61], v[60:61], -v[74:75]
	v_add_f64 v[74:75], v[22:23], v[90:91]
	v_add_f64 v[36:37], v[36:37], -v[38:39]
	v_add_f64 v[90:91], v[16:17], v[92:93]
	v_add_f64 v[38:39], v[58:59], -v[68:69]
	v_add_f64 v[92:93], v[18:19], v[94:95]
	v_add_f64 v[56:57], v[56:57], -v[62:63]
	v_add_f64 v[94:95], v[12:13], v[98:99]
	v_add_f64 v[58:59], v[70:71], -v[78:79]
	v_add_f64 v[98:99], v[14:15], v[102:103]
	v_add_f64 v[62:63], v[64:65], -v[72:73]
	s_waitcnt lgkmcnt(0)
	s_barrier
	buffer_gl0_inv
	v_fma_f64 v[20:21], v[119:120], -0.5, v[20:21]
	v_fma_f64 v[22:23], v[121:122], -0.5, v[22:23]
	v_fma_f64 v[16:17], v[123:124], -0.5, v[16:17]
	v_fma_f64 v[18:19], v[125:126], -0.5, v[18:19]
	v_fma_f64 v[12:13], v[127:128], -0.5, v[12:13]
	v_fma_f64 v[64:65], v[129:130], -0.5, v[14:15]
	v_add_f64 v[66:67], v[88:89], v[66:67]
	v_add_f64 v[68:69], v[74:75], v[76:77]
	;; [unrolled: 1-line block ×6, first 2 shown]
	v_fma_f64 v[76:77], v[60:61], s[6:7], v[20:21]
	v_fma_f64 v[20:21], v[60:61], s[2:3], v[20:21]
	;; [unrolled: 1-line block ×12, first 2 shown]
	ds_store_2addr_b64 v113, v[66:67], v[76:77] offset1:48
	ds_store_b64 v113, v[20:21] offset:768
	ds_store_2addr_b64 v118, v[68:69], v[60:61] offset1:48
	ds_store_b64 v118, v[22:23] offset:768
	;; [unrolled: 2-line block ×6, first 2 shown]
	s_waitcnt lgkmcnt(0)
	s_barrier
	buffer_gl0_inv
	ds_load_2addr_b64 v[36:39], v107 offset1:56
	ds_load_2addr_b64 v[68:71], v107 offset0:144 offset1:200
	ds_load_2addr_b64 v[64:67], v110 offset0:32 offset1:88
	;; [unrolled: 1-line block ×6, first 2 shown]
                                        ; implicit-def: $vgpr86_vgpr87
                                        ; implicit-def: $vgpr22_vgpr23
	s_and_saveexec_b32 s1, s0
	s_cbranch_execz .LBB0_17
; %bb.16:
	v_add_nc_u32_e32 v12, 0x200, v107
	v_add_nc_u32_e32 v16, 0xc00, v107
	;; [unrolled: 1-line block ×3, first 2 shown]
	ds_load_2addr_b64 v[12:15], v12 offset0:48 offset1:192
	ds_load_2addr_b64 v[16:19], v16 offset0:16 offset1:160
	;; [unrolled: 1-line block ×3, first 2 shown]
	ds_load_b64 v[86:87], v107 offset:7808
.LBB0_17:
	s_or_b32 exec_lo, exec_lo, s1
	s_and_saveexec_b32 s1, vcc_lo
	s_cbranch_execz .LBB0_20
; %bb.18:
	v_mul_u32_u24_e32 v81, 6, v81
	v_mul_u32_u24_e32 v104, 6, v80
	s_mov_b32 s2, 0xe976ee23
	s_mov_b32 s12, 0x37e14327
	;; [unrolled: 1-line block ×3, first 2 shown]
	v_lshlrev_b32_e32 v81, 4, v81
	v_lshlrev_b32_e32 v104, 4, v104
	s_mov_b32 s6, 0x429ad128
	s_mov_b32 s3, 0xbfe11646
	;; [unrolled: 1-line block ×3, first 2 shown]
	s_clause 0xb
	global_load_b128 v[88:91], v81, s[4:5] offset:2352
	global_load_b128 v[92:95], v81, s[4:5] offset:2272
	;; [unrolled: 1-line block ×12, first 2 shown]
	v_mov_b32_e32 v81, 0
	s_mov_b32 s11, 0x3fac98ee
	s_mov_b32 s7, 0x3febfeb5
	;; [unrolled: 1-line block ×14, first 2 shown]
	s_waitcnt vmcnt(7) lgkmcnt(5)
	v_mul_f64 v[145:146], v[68:69], v[109:110]
	s_waitcnt vmcnt(6) lgkmcnt(0)
	v_mul_f64 v[147:148], v[76:77], v[113:114]
	v_mul_f64 v[113:114], v[52:53], v[113:114]
	;; [unrolled: 1-line block ×11, first 2 shown]
	s_waitcnt vmcnt(5)
	v_mul_f64 v[149:150], v[44:45], v[117:118]
	s_waitcnt vmcnt(4)
	v_mul_f64 v[151:152], v[40:41], v[121:122]
	v_mul_f64 v[121:122], v[64:65], v[121:122]
	;; [unrolled: 1-line block ×3, first 2 shown]
	s_waitcnt vmcnt(3)
	v_mul_f64 v[153:154], v[62:63], v[125:126]
	s_waitcnt vmcnt(2)
	v_mul_f64 v[155:156], v[58:59], v[129:130]
	v_mul_f64 v[129:130], v[30:31], v[129:130]
	;; [unrolled: 1-line block ×3, first 2 shown]
	s_waitcnt vmcnt(1)
	v_mul_f64 v[157:158], v[60:61], v[133:134]
	s_waitcnt vmcnt(0)
	v_mul_f64 v[159:160], v[56:57], v[137:138]
	v_fma_f64 v[48:49], v[48:49], v[107:108], -v[145:146]
	v_fma_f64 v[52:53], v[52:53], v[111:112], -v[147:148]
	v_fma_f64 v[76:77], v[76:77], v[111:112], v[113:114]
	v_fma_f64 v[68:69], v[68:69], v[107:108], v[109:110]
	v_fma_f64 v[50:51], v[50:51], v[92:93], -v[139:140]
	v_fma_f64 v[54:55], v[54:55], v[88:89], -v[104:105]
	v_fma_f64 v[78:79], v[78:79], v[88:89], v[90:91]
	v_fma_f64 v[70:71], v[70:71], v[92:93], v[94:95]
	;; [unrolled: 1-line block ×4, first 2 shown]
	v_fma_f64 v[42:43], v[42:43], v[96:97], -v[98:99]
	v_fma_f64 v[46:47], v[46:47], v[100:101], -v[102:103]
	v_mul_f64 v[88:89], v[28:29], v[137:138]
	v_mul_f64 v[90:91], v[32:33], v[133:134]
	v_fma_f64 v[72:73], v[72:73], v[115:116], v[149:150]
	v_fma_f64 v[64:65], v[64:65], v[119:120], v[151:152]
	v_fma_f64 v[40:41], v[40:41], v[119:120], -v[121:122]
	v_fma_f64 v[44:45], v[44:45], v[115:116], -v[117:118]
	;; [unrolled: 1-line block ×4, first 2 shown]
	v_fma_f64 v[58:59], v[58:59], v[127:128], v[129:130]
	v_fma_f64 v[62:63], v[62:63], v[123:124], v[125:126]
	v_fma_f64 v[32:33], v[32:33], v[131:132], -v[157:158]
	v_fma_f64 v[28:29], v[28:29], v[135:136], -v[159:160]
	v_add_f64 v[100:101], v[48:49], v[52:53]
	v_add_f64 v[48:49], v[48:49], -v[52:53]
	v_add_f64 v[52:53], v[68:69], -v[76:77]
	v_add_f64 v[96:97], v[50:51], v[54:55]
	v_add_f64 v[50:51], v[50:51], -v[54:55]
	v_add_f64 v[92:93], v[70:71], v[78:79]
	;; [unrolled: 2-line block ×3, first 2 shown]
	v_add_f64 v[98:99], v[42:43], v[46:47]
	v_fma_f64 v[56:57], v[56:57], v[135:136], v[88:89]
	v_fma_f64 v[60:61], v[60:61], v[131:132], v[90:91]
	v_add_f64 v[88:89], v[68:69], v[76:77]
	v_add_f64 v[90:91], v[64:65], v[72:73]
	v_add_f64 v[42:43], v[42:43], -v[46:47]
	v_add_f64 v[102:103], v[40:41], v[44:45]
	v_add_f64 v[40:41], v[40:41], -v[44:45]
	v_add_f64 v[104:105], v[34:35], -v[30:31]
	v_add_f64 v[30:31], v[34:35], v[30:31]
	v_add_f64 v[46:47], v[62:63], v[58:59]
	v_add_f64 v[34:35], v[62:63], -v[58:59]
	v_add_f64 v[58:59], v[66:67], -v[74:75]
	;; [unrolled: 1-line block ×3, first 2 shown]
	v_add_f64 v[28:29], v[32:33], v[28:29]
	v_add_f64 v[44:45], v[92:93], v[94:95]
	;; [unrolled: 1-line block ×4, first 2 shown]
	v_add_f64 v[56:57], v[60:61], -v[56:57]
	v_add_f64 v[60:61], v[64:65], -v[72:73]
	v_add_f64 v[32:33], v[88:89], v[90:91]
	v_add_f64 v[64:65], v[100:101], v[102:103]
	v_add_f64 v[78:79], v[42:43], -v[50:51]
	v_add_f64 v[68:69], v[104:105], -v[42:43]
	;; [unrolled: 1-line block ×12, first 2 shown]
	v_add_f64 v[42:43], v[104:105], v[42:43]
	v_add_f64 v[104:105], v[54:55], -v[34:35]
	v_add_f64 v[58:59], v[34:35], v[58:59]
	v_add_f64 v[92:93], v[94:95], -v[92:93]
	v_add_f64 v[94:95], v[98:99], -v[96:97]
	v_add_f64 v[96:97], v[62:63], v[40:41]
	v_add_f64 v[62:63], v[48:49], -v[62:63]
	v_add_f64 v[44:45], v[46:47], v[44:45]
	v_add_f64 v[30:31], v[30:31], v[66:67]
	v_add_f64 v[46:47], v[70:71], -v[90:91]
	v_add_f64 v[66:67], v[56:57], -v[60:61]
	v_add_f64 v[32:33], v[70:71], v[32:33]
	v_add_f64 v[64:65], v[28:29], v[64:65]
	v_add_f64 v[117:118], v[60:61], -v[52:53]
	v_add_f64 v[70:71], v[88:89], -v[70:71]
	;; [unrolled: 1-line block ×3, first 2 shown]
	v_add_f64 v[60:61], v[56:57], v[60:61]
	v_mul_f64 v[68:69], v[68:69], s[2:3]
	v_mul_f64 v[72:73], v[72:73], s[10:11]
	;; [unrolled: 1-line block ×8, first 2 shown]
	v_add_f64 v[88:89], v[90:91], -v[88:89]
	v_add_f64 v[90:91], v[102:103], -v[100:101]
	v_mul_f64 v[100:101], v[119:120], s[10:11]
	v_mul_f64 v[127:128], v[111:112], s[6:7]
	v_add_f64 v[42:43], v[50:51], v[42:43]
	v_add_f64 v[50:51], v[54:55], v[58:59]
	;; [unrolled: 1-line block ×5, first 2 shown]
	v_add_f64 v[26:27], v[52:53], -v[56:57]
	v_mul_f64 v[46:47], v[46:47], s[10:11]
	v_mul_f64 v[56:57], v[66:67], s[2:3]
	v_add_f64 v[36:37], v[36:37], v[32:33]
	v_add_f64 v[34:35], v[24:25], v[64:65]
	v_mul_f64 v[66:67], v[115:116], s[6:7]
	v_mul_f64 v[129:130], v[117:118], s[6:7]
	;; [unrolled: 1-line block ×4, first 2 shown]
	v_add_f64 v[52:53], v[52:53], v[60:61]
	v_fma_f64 v[54:55], v[121:122], s[14:15], v[68:69]
	v_fma_f64 v[58:59], v[107:108], s[12:13], v[72:73]
	;; [unrolled: 1-line block ×4, first 2 shown]
	v_fma_f64 v[98:99], v[121:122], s[22:23], -v[98:99]
	v_fma_f64 v[107:108], v[92:93], s[20:21], -v[123:124]
	;; [unrolled: 1-line block ×5, first 2 shown]
	v_fma_f64 v[78:79], v[62:63], s[14:15], v[113:114]
	v_fma_f64 v[72:73], v[92:93], s[16:17], -v[72:73]
	v_fma_f64 v[28:29], v[28:29], s[12:13], v[100:101]
	v_fma_f64 v[74:75], v[94:95], s[16:17], -v[74:75]
	v_fma_f64 v[104:105], v[104:105], s[22:23], -v[127:128]
	v_fma_f64 v[44:45], v[44:45], s[18:19], v[40:41]
	v_fma_f64 v[30:31], v[30:31], s[18:19], v[38:39]
	;; [unrolled: 1-line block ×3, first 2 shown]
	v_fma_f64 v[46:47], v[88:89], s[16:17], -v[46:47]
	v_fma_f64 v[92:93], v[26:27], s[14:15], v[56:57]
	v_fma_f64 v[32:33], v[32:33], s[18:19], v[36:37]
	;; [unrolled: 1-line block ×3, first 2 shown]
	v_fma_f64 v[62:63], v[62:63], s[22:23], -v[66:67]
	v_fma_f64 v[26:27], v[26:27], s[22:23], -v[129:130]
	;; [unrolled: 1-line block ×7, first 2 shown]
	v_fma_f64 v[90:91], v[42:43], s[24:25], v[54:55]
	v_fma_f64 v[100:101], v[50:51], s[24:25], v[96:97]
	;; [unrolled: 1-line block ×7, first 2 shown]
	v_add_f64 v[68:69], v[58:59], v[44:45]
	v_add_f64 v[72:73], v[72:73], v[44:45]
	;; [unrolled: 1-line block ×6, first 2 shown]
	v_fma_f64 v[102:103], v[52:53], s[24:25], v[92:93]
	v_add_f64 v[109:110], v[70:71], v[32:33]
	v_add_f64 v[28:29], v[28:29], v[64:65]
	v_fma_f64 v[92:93], v[48:49], s[24:25], v[62:63]
	v_fma_f64 v[26:27], v[52:53], s[24:25], v[26:27]
	v_add_f64 v[24:25], v[24:25], v[32:33]
	v_add_f64 v[111:112], v[94:95], v[64:65]
	v_fma_f64 v[104:105], v[48:49], s[24:25], v[66:67]
	v_fma_f64 v[107:108], v[52:53], s[24:25], v[56:57]
	v_add_f64 v[32:33], v[46:47], v[32:33]
	v_add_f64 v[88:89], v[88:89], v[64:65]
	;; [unrolled: 1-line block ×3, first 2 shown]
	v_add_f64 v[64:65], v[68:69], -v[90:91]
	v_add_f64 v[52:53], v[72:73], -v[42:43]
	v_add_f64 v[56:57], v[42:43], v[72:73]
	v_add_f64 v[62:63], v[100:101], v[30:31]
	;; [unrolled: 1-line block ×3, first 2 shown]
	v_add_f64 v[60:61], v[58:59], -v[96:97]
	v_add_f64 v[68:69], v[109:110], -v[78:79]
	v_add_f64 v[66:67], v[102:103], v[28:29]
	v_add_f64 v[58:59], v[98:99], v[76:77]
	v_add_f64 v[46:47], v[76:77], -v[98:99]
	v_add_f64 v[72:73], v[24:25], -v[92:93]
	v_add_f64 v[70:71], v[26:27], v[111:112]
	v_add_f64 v[50:51], v[54:55], v[74:75]
	v_add_f64 v[54:55], v[74:75], -v[54:55]
	v_add_f64 v[76:77], v[104:105], v[32:33]
	v_add_f64 v[74:75], v[88:89], -v[107:108]
	v_add_f64 v[90:91], v[32:33], -v[104:105]
	v_add_f64 v[88:89], v[107:108], v[88:89]
	v_add_f64 v[94:95], v[92:93], v[24:25]
	v_add_f64 v[92:93], v[111:112], -v[26:27]
	v_add_f64 v[98:99], v[78:79], v[109:110]
	v_add_f64 v[96:97], v[28:29], -v[102:103]
	v_add_f64 v[42:43], v[30:31], -v[100:101]
	v_lshlrev_b64 v[24:25], 4, v[80:81]
	v_add_co_u32 v32, vcc_lo, s8, v82
	v_add_co_ci_u32_e32 v33, vcc_lo, s9, v83, vcc_lo
	s_delay_alu instid0(VALU_DEP_2) | instskip(NEXT) | instid1(VALU_DEP_2)
	v_add_co_u32 v24, vcc_lo, v32, v24
	v_add_co_ci_u32_e32 v25, vcc_lo, v33, v25, vcc_lo
	s_delay_alu instid0(VALU_DEP_2) | instskip(NEXT) | instid1(VALU_DEP_2)
	v_add_co_u32 v26, vcc_lo, 0x1000, v24
	v_add_co_ci_u32_e32 v27, vcc_lo, 0, v25, vcc_lo
	v_add_co_u32 v30, vcc_lo, 0x2000, v24
	v_add_co_ci_u32_e32 v31, vcc_lo, 0, v25, vcc_lo
	;; [unrolled: 2-line block ×3, first 2 shown]
	s_clause 0xd
	global_store_b128 v[24:25], v[34:37], off
	global_store_b128 v[24:25], v[38:41], off offset:896
	global_store_b128 v[24:25], v[66:69], off offset:2304
	global_store_b128 v[24:25], v[62:65], off offset:3200
	global_store_b128 v[26:27], v[70:73], off offset:512
	global_store_b128 v[26:27], v[58:61], off offset:1408
	global_store_b128 v[26:27], v[74:77], off offset:2816
	global_store_b128 v[26:27], v[54:57], off offset:3712
	global_store_b128 v[30:31], v[88:91], off offset:1024
	global_store_b128 v[30:31], v[50:53], off offset:1920
	global_store_b128 v[30:31], v[92:95], off offset:3328
	global_store_b128 v[28:29], v[46:49], off offset:128
	global_store_b128 v[28:29], v[96:99], off offset:1536
	global_store_b128 v[28:29], v[42:45], off offset:2432
	s_and_b32 exec_lo, exec_lo, s0
	s_cbranch_execz .LBB0_20
; %bb.19:
	v_subrev_nc_u32_e32 v34, 32, v80
	v_mov_b32_e32 v35, v81
	s_delay_alu instid0(VALU_DEP_2) | instskip(NEXT) | instid1(VALU_DEP_1)
	v_cndmask_b32_e64 v34, v34, v106, s0
	v_mul_i32_i24_e32 v34, 6, v34
	s_delay_alu instid0(VALU_DEP_1) | instskip(NEXT) | instid1(VALU_DEP_1)
	v_lshlrev_b64 v[34:35], 4, v[34:35]
	v_add_co_u32 v54, vcc_lo, s4, v34
	s_delay_alu instid0(VALU_DEP_2)
	v_add_co_ci_u32_e32 v55, vcc_lo, s5, v35, vcc_lo
	s_clause 0x5
	global_load_b128 v[34:37], v[54:55], off offset:2272
	global_load_b128 v[38:41], v[54:55], off offset:2288
	global_load_b128 v[42:45], v[54:55], off offset:2352
	global_load_b128 v[46:49], v[54:55], off offset:2336
	global_load_b128 v[50:53], v[54:55], off offset:2304
	global_load_b128 v[54:57], v[54:55], off offset:2320
	s_waitcnt vmcnt(5)
	v_mul_f64 v[58:59], v[14:15], v[36:37]
	v_mul_f64 v[36:37], v[2:3], v[36:37]
	s_waitcnt vmcnt(4)
	v_mul_f64 v[60:61], v[16:17], v[40:41]
	v_mul_f64 v[40:41], v[4:5], v[40:41]
	;; [unrolled: 3-line block ×6, first 2 shown]
	v_fma_f64 v[2:3], v[2:3], v[34:35], -v[58:59]
	v_fma_f64 v[14:15], v[14:15], v[34:35], v[36:37]
	v_fma_f64 v[4:5], v[4:5], v[38:39], -v[60:61]
	v_fma_f64 v[16:17], v[16:17], v[38:39], v[40:41]
	;; [unrolled: 2-line block ×6, first 2 shown]
	v_add_f64 v[38:39], v[2:3], v[34:35]
	v_add_f64 v[40:41], v[14:15], v[36:37]
	;; [unrolled: 1-line block ×4, first 2 shown]
	v_add_f64 v[4:5], v[4:5], -v[10:11]
	v_add_f64 v[10:11], v[16:17], -v[22:23]
	v_add_f64 v[16:17], v[6:7], v[8:9]
	v_add_f64 v[22:23], v[18:19], v[20:21]
	v_add_f64 v[6:7], v[8:9], -v[6:7]
	v_add_f64 v[8:9], v[20:21], -v[18:19]
	;; [unrolled: 1-line block ×4, first 2 shown]
	v_add_f64 v[2:3], v[42:43], v[38:39]
	v_add_f64 v[20:21], v[44:45], v[40:41]
	v_add_f64 v[34:35], v[38:39], -v[16:17]
	v_add_f64 v[36:37], v[40:41], -v[22:23]
	;; [unrolled: 1-line block ×6, first 2 shown]
	v_add_f64 v[4:5], v[6:7], v[4:5]
	v_add_f64 v[10:11], v[8:9], v[10:11]
	v_add_f64 v[6:7], v[18:19], -v[6:7]
	v_add_f64 v[8:9], v[14:15], -v[8:9]
	v_add_f64 v[54:55], v[16:17], v[2:3]
	v_add_f64 v[20:21], v[22:23], v[20:21]
	v_add_f64 v[16:17], v[16:17], -v[42:43]
	v_add_f64 v[22:23], v[22:23], -v[44:45]
	v_mul_f64 v[34:35], v[34:35], s[12:13]
	v_mul_f64 v[36:37], v[36:37], s[12:13]
	;; [unrolled: 1-line block ×6, first 2 shown]
	v_add_f64 v[4:5], v[4:5], v[18:19]
	v_add_f64 v[10:11], v[10:11], v[14:15]
	;; [unrolled: 1-line block ×4, first 2 shown]
	v_add_f64 v[12:13], v[42:43], -v[38:39]
	v_add_f64 v[38:39], v[44:45], -v[40:41]
	v_mul_f64 v[40:41], v[16:17], s[10:11]
	v_mul_f64 v[42:43], v[22:23], s[10:11]
	v_fma_f64 v[14:15], v[16:17], s[10:11], v[34:35]
	v_fma_f64 v[16:17], v[22:23], s[10:11], v[36:37]
	;; [unrolled: 1-line block ×4, first 2 shown]
	v_fma_f64 v[44:45], v[50:51], s[6:7], -v[46:47]
	v_fma_f64 v[46:47], v[52:53], s[6:7], -v[48:49]
	;; [unrolled: 1-line block ×4, first 2 shown]
	v_fma_f64 v[48:49], v[54:55], s[18:19], v[0:1]
	v_fma_f64 v[20:21], v[20:21], s[18:19], v[2:3]
	v_fma_f64 v[34:35], v[12:13], s[20:21], -v[34:35]
	v_fma_f64 v[36:37], v[38:39], s[20:21], -v[36:37]
	;; [unrolled: 1-line block ×4, first 2 shown]
	v_fma_f64 v[40:41], v[4:5], s[24:25], v[18:19]
	v_fma_f64 v[42:43], v[10:11], s[24:25], v[22:23]
	;; [unrolled: 1-line block ×6, first 2 shown]
	v_add_f64 v[50:51], v[14:15], v[48:49]
	v_add_f64 v[52:53], v[16:17], v[20:21]
	;; [unrolled: 1-line block ×6, first 2 shown]
	v_or_b32_e32 v38, 0x100, v80
	v_mov_b32_e32 v39, v81
	s_delay_alu instid0(VALU_DEP_1) | instskip(NEXT) | instid1(VALU_DEP_1)
	v_lshlrev_b64 v[38:39], 4, v[38:39]
	v_add_co_u32 v38, vcc_lo, v32, v38
	s_delay_alu instid0(VALU_DEP_2)
	v_add_co_ci_u32_e32 v39, vcc_lo, v33, v39, vcc_lo
	v_add_f64 v[4:5], v[42:43], v[50:51]
	v_add_f64 v[6:7], v[52:53], -v[40:41]
	v_add_f64 v[8:9], v[46:47], v[34:35]
	v_add_f64 v[10:11], v[36:37], -v[44:45]
	v_add_f64 v[12:13], v[16:17], -v[22:23]
	v_add_f64 v[14:15], v[18:19], v[20:21]
	v_add_f64 v[16:17], v[22:23], v[16:17]
	v_add_f64 v[18:19], v[20:21], -v[18:19]
	v_add_f64 v[20:21], v[34:35], -v[46:47]
	v_add_f64 v[22:23], v[44:45], v[36:37]
	v_add_f64 v[34:35], v[50:51], -v[42:43]
	v_add_f64 v[36:37], v[40:41], v[52:53]
	v_or_b32_e32 v40, 0x220, v80
	v_mov_b32_e32 v41, v81
	v_or_b32_e32 v80, 0x340, v80
	s_delay_alu instid0(VALU_DEP_2) | instskip(NEXT) | instid1(VALU_DEP_2)
	v_lshlrev_b64 v[40:41], 4, v[40:41]
	v_lshlrev_b64 v[42:43], 4, v[80:81]
	s_delay_alu instid0(VALU_DEP_2) | instskip(NEXT) | instid1(VALU_DEP_3)
	v_add_co_u32 v40, vcc_lo, v32, v40
	v_add_co_ci_u32_e32 v41, vcc_lo, v33, v41, vcc_lo
	s_delay_alu instid0(VALU_DEP_3) | instskip(NEXT) | instid1(VALU_DEP_4)
	v_add_co_u32 v32, vcc_lo, v32, v42
	v_add_co_ci_u32_e32 v33, vcc_lo, v33, v43, vcc_lo
	s_clause 0x6
	global_store_b128 v[24:25], v[0:3], off offset:1792
	global_store_b128 v[26:27], v[8:11], off offset:2304
	global_store_b128 v[38:39], v[4:7], off
	global_store_b128 v[40:41], v[12:15], off
	;; [unrolled: 1-line block ×3, first 2 shown]
	global_store_b128 v[30:31], v[16:19], off offset:2816
	global_store_b128 v[28:29], v[34:37], off offset:3328
.LBB0_20:
	s_nop 0
	s_sendmsg sendmsg(MSG_DEALLOC_VGPRS)
	s_endpgm
	.section	.rodata,"a",@progbits
	.p2align	6, 0x0
	.amdhsa_kernel fft_rtc_fwd_len1008_factors_2_2_2_2_3_3_7_wgs_56_tpt_56_halfLds_dp_ip_CI_unitstride_sbrr_dirReg
		.amdhsa_group_segment_fixed_size 0
		.amdhsa_private_segment_fixed_size 0
		.amdhsa_kernarg_size 88
		.amdhsa_user_sgpr_count 15
		.amdhsa_user_sgpr_dispatch_ptr 0
		.amdhsa_user_sgpr_queue_ptr 0
		.amdhsa_user_sgpr_kernarg_segment_ptr 1
		.amdhsa_user_sgpr_dispatch_id 0
		.amdhsa_user_sgpr_private_segment_size 0
		.amdhsa_wavefront_size32 1
		.amdhsa_uses_dynamic_stack 0
		.amdhsa_enable_private_segment 0
		.amdhsa_system_sgpr_workgroup_id_x 1
		.amdhsa_system_sgpr_workgroup_id_y 0
		.amdhsa_system_sgpr_workgroup_id_z 0
		.amdhsa_system_sgpr_workgroup_info 0
		.amdhsa_system_vgpr_workitem_id 0
		.amdhsa_next_free_vgpr 166
		.amdhsa_next_free_sgpr 26
		.amdhsa_reserve_vcc 1
		.amdhsa_float_round_mode_32 0
		.amdhsa_float_round_mode_16_64 0
		.amdhsa_float_denorm_mode_32 3
		.amdhsa_float_denorm_mode_16_64 3
		.amdhsa_dx10_clamp 1
		.amdhsa_ieee_mode 1
		.amdhsa_fp16_overflow 0
		.amdhsa_workgroup_processor_mode 1
		.amdhsa_memory_ordered 1
		.amdhsa_forward_progress 0
		.amdhsa_shared_vgpr_count 0
		.amdhsa_exception_fp_ieee_invalid_op 0
		.amdhsa_exception_fp_denorm_src 0
		.amdhsa_exception_fp_ieee_div_zero 0
		.amdhsa_exception_fp_ieee_overflow 0
		.amdhsa_exception_fp_ieee_underflow 0
		.amdhsa_exception_fp_ieee_inexact 0
		.amdhsa_exception_int_div_zero 0
	.end_amdhsa_kernel
	.text
.Lfunc_end0:
	.size	fft_rtc_fwd_len1008_factors_2_2_2_2_3_3_7_wgs_56_tpt_56_halfLds_dp_ip_CI_unitstride_sbrr_dirReg, .Lfunc_end0-fft_rtc_fwd_len1008_factors_2_2_2_2_3_3_7_wgs_56_tpt_56_halfLds_dp_ip_CI_unitstride_sbrr_dirReg
                                        ; -- End function
	.section	.AMDGPU.csdata,"",@progbits
; Kernel info:
; codeLenInByte = 13392
; NumSgprs: 28
; NumVgprs: 166
; ScratchSize: 0
; MemoryBound: 1
; FloatMode: 240
; IeeeMode: 1
; LDSByteSize: 0 bytes/workgroup (compile time only)
; SGPRBlocks: 3
; VGPRBlocks: 20
; NumSGPRsForWavesPerEU: 28
; NumVGPRsForWavesPerEU: 166
; Occupancy: 9
; WaveLimiterHint : 1
; COMPUTE_PGM_RSRC2:SCRATCH_EN: 0
; COMPUTE_PGM_RSRC2:USER_SGPR: 15
; COMPUTE_PGM_RSRC2:TRAP_HANDLER: 0
; COMPUTE_PGM_RSRC2:TGID_X_EN: 1
; COMPUTE_PGM_RSRC2:TGID_Y_EN: 0
; COMPUTE_PGM_RSRC2:TGID_Z_EN: 0
; COMPUTE_PGM_RSRC2:TIDIG_COMP_CNT: 0
	.text
	.p2alignl 7, 3214868480
	.fill 96, 4, 3214868480
	.type	__hip_cuid_54f20a4420dc8618,@object ; @__hip_cuid_54f20a4420dc8618
	.section	.bss,"aw",@nobits
	.globl	__hip_cuid_54f20a4420dc8618
__hip_cuid_54f20a4420dc8618:
	.byte	0                               ; 0x0
	.size	__hip_cuid_54f20a4420dc8618, 1

	.ident	"AMD clang version 19.0.0git (https://github.com/RadeonOpenCompute/llvm-project roc-6.4.0 25133 c7fe45cf4b819c5991fe208aaa96edf142730f1d)"
	.section	".note.GNU-stack","",@progbits
	.addrsig
	.addrsig_sym __hip_cuid_54f20a4420dc8618
	.amdgpu_metadata
---
amdhsa.kernels:
  - .args:
      - .actual_access:  read_only
        .address_space:  global
        .offset:         0
        .size:           8
        .value_kind:     global_buffer
      - .offset:         8
        .size:           8
        .value_kind:     by_value
      - .actual_access:  read_only
        .address_space:  global
        .offset:         16
        .size:           8
        .value_kind:     global_buffer
      - .actual_access:  read_only
        .address_space:  global
        .offset:         24
        .size:           8
        .value_kind:     global_buffer
      - .offset:         32
        .size:           8
        .value_kind:     by_value
      - .actual_access:  read_only
        .address_space:  global
        .offset:         40
        .size:           8
        .value_kind:     global_buffer
      - .actual_access:  read_only
        .address_space:  global
        .offset:         48
        .size:           8
        .value_kind:     global_buffer
      - .offset:         56
        .size:           4
        .value_kind:     by_value
      - .actual_access:  read_only
        .address_space:  global
        .offset:         64
        .size:           8
        .value_kind:     global_buffer
      - .actual_access:  read_only
        .address_space:  global
        .offset:         72
        .size:           8
        .value_kind:     global_buffer
      - .address_space:  global
        .offset:         80
        .size:           8
        .value_kind:     global_buffer
    .group_segment_fixed_size: 0
    .kernarg_segment_align: 8
    .kernarg_segment_size: 88
    .language:       OpenCL C
    .language_version:
      - 2
      - 0
    .max_flat_workgroup_size: 56
    .name:           fft_rtc_fwd_len1008_factors_2_2_2_2_3_3_7_wgs_56_tpt_56_halfLds_dp_ip_CI_unitstride_sbrr_dirReg
    .private_segment_fixed_size: 0
    .sgpr_count:     28
    .sgpr_spill_count: 0
    .symbol:         fft_rtc_fwd_len1008_factors_2_2_2_2_3_3_7_wgs_56_tpt_56_halfLds_dp_ip_CI_unitstride_sbrr_dirReg.kd
    .uniform_work_group_size: 1
    .uses_dynamic_stack: false
    .vgpr_count:     166
    .vgpr_spill_count: 0
    .wavefront_size: 32
    .workgroup_processor_mode: 1
amdhsa.target:   amdgcn-amd-amdhsa--gfx1100
amdhsa.version:
  - 1
  - 2
...

	.end_amdgpu_metadata
